;; amdgpu-corpus repo=ROCm/aiter kind=harvested arch=n/a opt=n/a

/root/src/amdgpu-assembly/repos/ROCm__aiter/hsa/gfx942/fmha_v3_bwd/bwd_hd64_bf16_causal_a32_rtne_pssk.co:	file format elf64-amdgpu

Disassembly of section .text:

0000000000003e00 <_ZN5aiter39fmha_bwd_hd64_bf16_causal_a32_rtne_psskE>:
	s_and_b32 s1, s1, 0xffff                                   // 000000003E00: 8601FF01 0000FFFF
	s_load_dwordx2 s[32:33], s[0:1], 0x0                       // 000000003E08: C0060800 00000000
	s_load_dwordx2 s[36:37], s[0:1], 0x10                      // 000000003E10: C0060900 00000010
	s_load_dwordx2 s[40:41], s[0:1], 0x20                      // 000000003E18: C0060A00 00000020
	s_load_dwordx2 s[8:9], s[0:1], 0x30                        // 000000003E20: C0060200 00000030
	s_load_dwordx2 s[12:13], s[0:1], 0x40                      // 000000003E28: C0060300 00000040
	s_load_dwordx2 s[16:17], s[0:1], 0x50                      // 000000003E30: C0060400 00000050
	s_load_dwordx2 s[20:21], s[0:1], 0x60                      // 000000003E38: C0060500 00000060
	s_load_dwordx2 s[24:25], s[0:1], 0x70                      // 000000003E40: C0060600 00000070
	s_load_dwordx2 s[28:29], s[0:1], 0x80                      // 000000003E48: C0060700 00000080
	s_load_dword s47, s[0:1], 0x90                             // 000000003E50: C0020BC0 00000090
	s_load_dword s48, s[0:1], 0xa0                             // 000000003E58: C0020C00 000000A0
	s_load_dword s49, s[0:1], 0xb0                             // 000000003E60: C0020C40 000000B0
	s_load_dword s78, s[0:1], 0xd0                             // 000000003E68: C0021380 000000D0
	s_load_dword s79, s[0:1], 0xe0                             // 000000003E70: C00213C0 000000E0
	s_load_dword s5, s[0:1], 0xf0                              // 000000003E78: C0020140 000000F0
	s_load_dword s44, s[0:1], 0x100                            // 000000003E80: C0020B00 00000100
	s_load_dword s80, s[0:1], 0x110                            // 000000003E88: C0021400 00000110
	s_load_dword s81, s[0:1], 0x120                            // 000000003E90: C0021440 00000120
	s_load_dword s6, s[0:1], 0x130                             // 000000003E98: C0020180 00000130
	s_load_dword s52, s[0:1], 0x140                            // 000000003EA0: C0020D00 00000140
	s_load_dword s50, s[0:1], 0x150                            // 000000003EA8: C0020C80 00000150
	s_load_dword s100, s[0:1], 0x180                           // 000000003EB0: C0021900 00000180
	s_load_dword s90, s[0:1], 0x190                            // 000000003EB8: C0021680 00000190
	s_load_dword s91, s[0:1], 0x1a0                            // 000000003EC0: C00216C0 000001A0
	s_load_dword s7, s[0:1], 0x1b0                             // 000000003EC8: C00201C0 000001B0
	s_load_dword s92, s[0:1], 0x1c0                            // 000000003ED0: C0021700 000001C0
	s_load_dword s93, s[0:1], 0x1d0                            // 000000003ED8: C0021740 000001D0
	s_load_dword s51, s[0:1], 0x1e0                            // 000000003EE0: C0020CC0 000001E0
	s_load_dword s94, s[0:1], 0x1f0                            // 000000003EE8: C0021780 000001F0
	s_load_dword s95, s[0:1], 0x200                            // 000000003EF0: C00217C0 00000200
	s_load_dword s96, s[0:1], 0x210                            // 000000003EF8: C0021800 00000210
	s_load_dword s97, s[0:1], 0x220                            // 000000003F00: C0021840 00000220
	s_load_dword s53, s[0:1], 0x230                            // 000000003F08: C0020D40 00000230
	v_lshrrev_b32_e32 v1, 10, v0                               // 000000003F10: 2002008A
	v_lshrrev_b32_e32 v2, 10, v1                               // 000000003F14: 2004028A
	v_and_b32_e32 v2, 0x3ff, v2                                // 000000003F18: 260404FF 000003FF
	v_and_b32_e32 v1, 0x3ff, v1                                // 000000003F20: 260202FF 000003FF
	v_and_b32_e32 v0, 0x3ff, v0                                // 000000003F28: 260000FF 000003FF
	v_lshrrev_b32_e32 v3, 6, v0                                // 000000003F30: 20060086
	v_and_b32_e32 v0, 63, v0                                   // 000000003F34: 260000BF
	s_mov_b32 s2, s2                                           // 000000003F38: BE820002
	s_mov_b32 s3, s3                                           // 000000003F3C: BE830003
	s_mov_b32 s4, s4                                           // 000000003F40: BE840004
	v_readfirstlane_b32 s46, v3                                // 000000003F44: 7E5C0503
	s_waitcnt lgkmcnt(0)                                       // 000000003F48: BF8CC07F
	s_mov_b32 s11, 0x20000                                     // 000000003F4C: BE8B00FF 00020000
	s_mov_b32 s15, 0x20000                                     // 000000003F54: BE8F00FF 00020000
	s_mov_b32 s19, 0x20000                                     // 000000003F5C: BE9300FF 00020000
	s_mov_b32 s23, 0x20000                                     // 000000003F64: BE9700FF 00020000
	s_mov_b32 s27, 0x20000                                     // 000000003F6C: BE9B00FF 00020000
	s_mov_b32 s31, 0x20000                                     // 000000003F74: BE9F00FF 00020000
	s_mov_b32 s35, 0x20000                                     // 000000003F7C: BEA300FF 00020000
	s_mov_b32 s39, 0x20000                                     // 000000003F84: BEA700FF 00020000
	s_mov_b32 s43, 0x20000                                     // 000000003F8C: BEAB00FF 00020000
	s_and_b32 s9, s9, 0xffff                                   // 000000003F94: 8609FF09 0000FFFF
	s_and_b32 s13, s13, 0xffff                                 // 000000003F9C: 860DFF0D 0000FFFF
	s_and_b32 s17, s17, 0xffff                                 // 000000003FA4: 8611FF11 0000FFFF
	s_and_b32 s21, s21, 0xffff                                 // 000000003FAC: 8615FF15 0000FFFF
	s_and_b32 s25, s25, 0xffff                                 // 000000003FB4: 8619FF19 0000FFFF
	s_and_b32 s29, s29, 0xffff                                 // 000000003FBC: 861DFF1D 0000FFFF
	s_and_b32 s33, s33, 0xffff                                 // 000000003FC4: 8621FF21 0000FFFF
	s_and_b32 s37, s37, 0xffff                                 // 000000003FCC: 8625FF25 0000FFFF
	s_and_b32 s41, s41, 0xffff                                 // 000000003FD4: 8629FF29 0000FFFF
	s_or_b32 s9, s9, 0x40000                                   // 000000003FDC: 8709FF09 00040000
	s_or_b32 s13, s13, 0x40000                                 // 000000003FE4: 870DFF0D 00040000
	s_or_b32 s17, s17, 0x40000                                 // 000000003FEC: 8711FF11 00040000
	s_or_b32 s21, s21, 0x40000                                 // 000000003FF4: 8715FF15 00040000
	s_or_b32 s25, s25, 0x40000                                 // 000000003FFC: 8719FF19 00040000
	s_or_b32 s29, s29, 0x40000                                 // 000000004004: 871DFF1D 00040000
	s_or_b32 s33, s33, 0x40000                                 // 00000000400C: 8721FF21 00040000
	s_or_b32 s37, s37, 0x40000                                 // 000000004014: 8725FF25 00040000
	s_or_b32 s41, s41, 0x40000                                 // 00000000401C: 8729FF29 00040000
	v_accvgpr_write_b32 a159, 0                                // 000000004024: D3D9409F 18000080
	v_mov_b32_e32 v235, 0                                      // 00000000402C: 7FD60280
	s_mov_b32 s71, s3                                          // 000000004030: BEC70003
	v_cvt_f32_u32_e32 v32, s44                                 // 000000004034: 7E400C2C
	s_sub_i32 s60, 0, s44                                      // 000000004038: 81BC2C80
	v_rcp_iflag_f32_e32 v32, v32                               // 00000000403C: 7E404720
	s_nop 0                                                    // 000000004040: BF800000
	v_mul_f32_e32 v32, 0x4f7ffffe, v32                         // 000000004044: 0A4040FF 4F7FFFFE
	v_cvt_u32_f32_e32 v32, v32                                 // 00000000404C: 7E400F20
	v_mul_lo_u32 v33, s60, v32                                 // 000000004050: D2850021 0002403C
	v_mul_hi_u32 v33, v32, v33                                 // 000000004058: D2860021 00024320
	v_add_u32_e32 v32, v32, v33                                // 000000004060: 68404320
	v_mul_hi_u32 v32, s71, v32                                 // 000000004064: D2860020 00024047
	v_mul_lo_u32 v33, v32, s44                                 // 00000000406C: D2850021 00005920
	v_sub_u32_e32 v35, s71, v33                                // 000000004074: 6A464247
	v_add_u32_e32 v34, 1, v32                                  // 000000004078: 68444081
	v_cmp_le_u32_e32 vcc, s44, v35                             // 00000000407C: 7D96462C
	v_subrev_u32_e32 v33, s44, v35                             // 000000004080: 6C42462C
	s_nop 0                                                    // 000000004084: BF800000
	v_cndmask_b32_e32 v32, v32, v34, vcc                       // 000000004088: 00404520
	v_cndmask_b32_e32 v35, v35, v33, vcc                       // 00000000408C: 00464323
	v_add_u32_e32 v33, 1, v32                                  // 000000004090: 68424081
	v_cmp_le_u32_e32 vcc, s44, v35                             // 000000004094: 7D96462C
	s_nop 1                                                    // 000000004098: BF800001
	v_cndmask_b32_e32 v35, v32, v33, vcc                       // 00000000409C: 00464320
	s_nop 3                                                    // 0000000040A0: BF800003
	v_readfirstlane_b32 s45, v35                               // 0000000040A4: 7E5A0523
	s_nop 3                                                    // 0000000040A8: BF800003
	s_mul_i32 s61, s45, s80                                    // 0000000040AC: 923D502D
	s_mov_b32 s54, s61                                         // 0000000040B0: BEB6003D
	s_add_u32 s12, s54, s12                                    // 0000000040B4: 800C0C36
	s_addc_u32 s13, 0, s13                                     // 0000000040B8: 820D0D80
	s_mul_i32 s60, s4, s81                                     // 0000000040BC: 923C5104
	s_mul_hi_u32 s61, s4, s81                                  // 0000000040C0: 963D5104
	s_and_b32 s61, s61, 0xffff                                 // 0000000040C4: 863DFF3D 0000FFFF
	s_add_u32 s12, s12, s60                                    // 0000000040CC: 800C3C0C
	s_addc_u32 s13, s13, s61                                   // 0000000040D0: 820D3D0D
	s_mul_i32 s61, s45, s90                                    // 0000000040D4: 923D5A2D
	s_mov_b32 s54, s61                                         // 0000000040D8: BEB6003D
	s_add_u32 s16, s54, s16                                    // 0000000040DC: 80101036
	s_addc_u32 s17, 0, s17                                     // 0000000040E0: 82111180
	s_mul_i32 s60, s4, s91                                     // 0000000040E4: 923C5B04
	s_mul_hi_u32 s61, s4, s91                                  // 0000000040E8: 963D5B04
	s_and_b32 s61, s61, 0xffff                                 // 0000000040EC: 863DFF3D 0000FFFF
	s_add_u32 s16, s16, s60                                    // 0000000040F4: 80103C10
	s_addc_u32 s17, s17, s61                                   // 0000000040F8: 82113D11
	s_mul_i32 s61, s3, s78                                     // 0000000040FC: 923D4E03
	s_mov_b32 s55, s61                                         // 000000004100: BEB7003D
	s_add_u32 s8, s55, s8                                      // 000000004104: 80080837
	s_addc_u32 s9, 0, s9                                       // 000000004108: 82090980
	s_mul_i32 s60, s4, s79                                     // 00000000410C: 923C4F04
	s_mul_hi_u32 s61, s4, s79                                  // 000000004110: 963D4F04
	s_and_b32 s61, s61, 0xffff                                 // 000000004114: 863DFF3D 0000FFFF
	s_add_u32 s8, s8, s60                                      // 00000000411C: 80083C08
	s_addc_u32 s9, s9, s61                                     // 000000004120: 82093D09
	s_mul_i32 s61, s3, s92                                     // 000000004124: 923D5C03
	s_mov_b32 s56, s61                                         // 000000004128: BEB8003D
	s_add_u32 s20, s56, s20                                    // 00000000412C: 80141438
	s_addc_u32 s21, 0, s21                                     // 000000004130: 82151580
	s_mul_i32 s60, s4, s93                                     // 000000004134: 923C5D04
	s_mul_hi_u32 s61, s4, s93                                  // 000000004138: 963D5D04
	s_and_b32 s61, s61, 0xffff                                 // 00000000413C: 863DFF3D 0000FFFF
	s_add_u32 s20, s20, s60                                    // 000000004144: 80143C14
	s_addc_u32 s21, s21, s61                                   // 000000004148: 82153D15
	s_mul_i32 s62, s4, s100                                    // 00000000414C: 923E6404
	s_mul_i32 s62, s62, s49                                    // 000000004150: 923E313E
	s_lshl_b32 s62, s62, 2                                     // 000000004154: 8E3E823E
	s_mul_i32 s61, s3, s49                                     // 000000004158: 923D3103
	s_mul_i32 s61, 4, s61                                      // 00000000415C: 923D3D84
	s_add_u32 s65, s61, s62                                    // 000000004160: 80413E3D
	s_mov_b32 s26, s49                                         // 000000004164: BE9A0031
	s_mov_b32 s30, s49                                         // 000000004168: BE9E0031
	s_add_u32 s24, s65, s24                                    // 00000000416C: 80181841
	s_addc_u32 s25, 0, s25                                     // 000000004170: 82191980
	s_add_u32 s28, s65, s28                                    // 000000004174: 801C1C41
	s_addc_u32 s29, 0, s29                                     // 000000004178: 821D1D80
	s_mul_i32 s61, s3, s94                                     // 00000000417C: 923D5E03
	s_mul_i32 s62, s4, s95                                     // 000000004180: 923E5F04
	s_add_u32 s60, s61, s62                                    // 000000004184: 803C3E3D
	s_mul_hi_u32 s61, s4, s95                                  // 000000004188: 963D5F04
	s_and_b32 s61, s61, 0xffff                                 // 00000000418C: 863DFF3D 0000FFFF
	s_add_u32 s36, s60, s36                                    // 000000004194: 8024243C
	s_addc_u32 s37, s61, s37                                   // 000000004198: 8225253D
	s_mul_i32 s60, s50, s52                                    // 00000000419C: 923C3432
	s_lshr_b32 s60, s60, 2                                     // 0000000041A0: 8F3C823C
	s_mov_b32 s38, s60                                         // 0000000041A4: BEA6003C
	s_mul_i32 s61, s3, s96                                     // 0000000041A8: 923D6003
	s_mul_i32 s62, s4, s97                                     // 0000000041AC: 923E6104
	s_add_u32 s60, s61, s62                                    // 0000000041B0: 803C3E3D
	s_mul_hi_u32 s61, s4, s97                                  // 0000000041B4: 963D6104
	s_and_b32 s61, s61, 0xffff                                 // 0000000041B8: 863DFF3D 0000FFFF
	s_add_u32 s40, s60, s40                                    // 0000000041C0: 8028283C
	s_addc_u32 s41, s61, s41                                   // 0000000041C4: 8229293D
	s_mul_i32 s60, s50, s53                                    // 0000000041C8: 923C3532
	s_lshr_b32 s60, s60, 2                                     // 0000000041CC: 8F3C823C
	s_mov_b32 s42, s60                                         // 0000000041D0: BEAA003C
	s_mul_i32 s60, 64, s65                                     // 0000000041D4: 923C41C0
	s_mul_hi_u32 s61, 64, s65                                  // 0000000041D8: 963D41C0
	s_and_b32 s61, s61, 0xffff                                 // 0000000041DC: 863DFF3D 0000FFFF
	s_add_u32 s32, s60, s32                                    // 0000000041E4: 8020203C
	s_addc_u32 s33, s61, s33                                   // 0000000041E8: 8221213D
	s_mul_i32 s60, 64, s49                                     // 0000000041EC: 923C31C0
	s_mov_b32 s34, s60                                         // 0000000041F0: BEA2003C
	s_mov_b32 s82, s8                                          // 0000000041F4: BED20008
	s_mov_b32 s84, s12                                         // 0000000041F8: BED4000C
	s_mov_b32 s86, s16                                         // 0000000041FC: BED60010
	s_mov_b32 s88, s20                                         // 000000004200: BED80014
	s_mov_b32 s83, s9                                          // 000000004204: BED30009
	s_mov_b32 s85, s13                                         // 000000004208: BED5000D
	s_mov_b32 s87, s17                                         // 00000000420C: BED70011
	s_mov_b32 s89, s21                                         // 000000004210: BED90015
	s_add_u32 s71, 0xbf, s50                                   // 000000004214: 804732FF 000000BF
	s_mov_b32 s74, 0xc0                                        // 00000000421C: BECA00FF 000000C0
	v_cvt_f32_u32_e32 v32, s74                                 // 000000004224: 7E400C4A
	s_sub_i32 s60, 0, s74                                      // 000000004228: 81BC4A80
	v_rcp_iflag_f32_e32 v32, v32                               // 00000000422C: 7E404720
	s_nop 0                                                    // 000000004230: BF800000
	v_mul_f32_e32 v32, 0x4f7ffffe, v32                         // 000000004234: 0A4040FF 4F7FFFFE
	v_cvt_u32_f32_e32 v32, v32                                 // 00000000423C: 7E400F20
	v_mul_lo_u32 v33, s60, v32                                 // 000000004240: D2850021 0002403C
	v_mul_hi_u32 v33, v32, v33                                 // 000000004248: D2860021 00024320
	v_add_u32_e32 v32, v32, v33                                // 000000004250: 68404320
	v_mul_hi_u32 v32, s71, v32                                 // 000000004254: D2860020 00024047
	v_mul_lo_u32 v33, v32, s74                                 // 00000000425C: D2850021 00009520
	v_sub_u32_e32 v35, s71, v33                                // 000000004264: 6A464247
	v_add_u32_e32 v34, 1, v32                                  // 000000004268: 68444081
	v_cmp_le_u32_e32 vcc, s74, v35                             // 00000000426C: 7D96464A
	v_subrev_u32_e32 v33, s74, v35                             // 000000004270: 6C42464A
	s_nop 0                                                    // 000000004274: BF800000
	v_cndmask_b32_e32 v32, v32, v34, vcc                       // 000000004278: 00404520
	v_cndmask_b32_e32 v35, v35, v33, vcc                       // 00000000427C: 00464323
	v_add_u32_e32 v33, 1, v32                                  // 000000004280: 68424081
	v_cmp_le_u32_e32 vcc, s74, v35                             // 000000004284: 7D96464A
	s_nop 1                                                    // 000000004288: BF800001
	v_cndmask_b32_e32 v35, v32, v33, vcc                       // 00000000428C: 00464320
	s_nop 3                                                    // 000000004290: BF800003
	v_readfirstlane_b32 s77, v35                               // 000000004294: 7E9A0523
	s_nop 3                                                    // 000000004298: BF800003
	v_mov_b32_e32 v32, s47                                     // 00000000429C: 7E40022F
	v_mul_f32_e32 v32, s48, v32                                // 0000000042A0: 0A404030
	s_mov_b32 s58, s49                                         // 0000000042A4: BEBA0031
	s_mov_b32 s59, 0                                           // 0000000042A8: BEBB0080
	s_mov_b32 s63, 0x5040100                                   // 0000000042AC: BEBF00FF 05040100
	s_mov_b32 s64, 0x7060302                                   // 0000000042B4: BEC000FF 07060302
	v_readfirstlane_b32 s57, v32                               // 0000000042BC: 7E720520
	v_mov_b32_e32 v34, 0x3020706                               // 0000000042C0: 7E4402FF 03020706
	v_mov_b32_e32 v32, s63                                     // 0000000042C8: 7E40023F
	v_and_b32_e32 v33, 1, v0                                   // 0000000042CC: 26420081
	v_cmp_eq_u32_e32 vcc, 1, v33                               // 0000000042D0: 7D944281
	s_mov_b32 s67, 0x800                                       // 0000000042D4: BEC300FF 00000800
	s_nop 0                                                    // 0000000042DC: BF800000
	v_cndmask_b32_e32 v17, v32, v34, vcc                       // 0000000042E0: 00224520
	v_mov_b32_e32 v229, 0xffff0000                             // 0000000042E4: 7FCA02FF FFFF0000
	v_mov_b32_e32 v230, 0x7fff0000                             // 0000000042EC: 7FCC02FF 7FFF0000
	v_mov_b32_e32 v231, 0x7fff                                 // 0000000042F4: 7FCE02FF 00007FFF
	s_cmp_lt_u32 s46, 2                                        // 0000000042FC: BF0A822E
	s_cselect_b32 s24, s24, s28                                // 000000004300: 85181C18
	s_cselect_b32 s25, s25, s29                                // 000000004304: 85191D19
	s_cselect_b32 s26, s26, s30                                // 000000004308: 851A1E1A
	s_cselect_b32 s27, s27, s31                                // 00000000430C: 851B1F1B
	s_lshr_b32 s60, s46, 1                                     // 000000004310: 8F3C812E
	s_lshl_b32 s60, s60, 8                                     // 000000004314: 8E3C883C
	s_add_u32 s80, 0x9a00, s60                                 // 000000004318: 80503CFF 00009A00
	s_add_u32 s81, 0x200, s80                                  // 000000004320: 805150FF 00000200
	s_mov_b32 m0, s80                                          // 000000004328: BEFC0050
	s_mov_b32 s75, 0                                           // 00000000432C: BECB0080
	s_mov_b32 s76, 1                                           // 000000004330: BECC0081
	s_lshl_b32 s60, s2, 1                                      // 000000004334: 8E3C8102
	s_add_u32 s60, 1, s60                                      // 000000004338: 803C3C81
	s_cmp_ge_i32 s60, s77                                      // 00000000433C: BF034D3C
	s_cselect_b32 s76, s76, 2                                  // 000000004340: 854C824C

0000000000004344 <label_0151>:
	s_mov_b32 m0, s80                                          // 000000004344: BEFC0050
	s_mov_b32 s66, 0                                           // 000000004348: BEC20080
	v_mov_b32_e32 v178, 0xff800000                             // 00000000434C: 7F6402FF FF800000
	s_mov_b32 s74, 0                                           // 000000004354: BECA0080
	s_mul_i32 s68, 8, s5                                       // 000000004358: 92440588
	s_mul_i32 s99, 8, s51                                      // 00000000435C: 92633388
	s_mov_b32 s69, 32                                          // 000000004360: BEC500A0
	s_mul_i32 s59, 0xc0, s2                                    // 000000004364: 923B02FF 000000C0
	s_mul_i32 s54, s6, s59                                     // 00000000436C: 92363B06
	s_sub_i32 s61, s50, s59                                    // 000000004370: 81BD3B32
	s_mul_i32 s62, s6, s61                                     // 000000004374: 923E3D06
	s_lshr_b32 s62, s62, 2                                     // 000000004378: 8F3E823E
	s_mov_b32 s14, s62                                         // 00000000437C: BE8E003E
	s_add_u32 s12, s54, s84                                    // 000000004380: 800C5436
	s_addc_u32 s13, 0, s85                                     // 000000004384: 820D5580
	s_mul_i32 s54, s7, s59                                     // 000000004388: 92363B07
	s_mul_i32 s62, s7, s61                                     // 00000000438C: 923E3D07
	s_lshr_b32 s62, s62, 2                                     // 000000004390: 8F3E823E
	s_mov_b32 s18, s62                                         // 000000004394: BE92003E
	s_add_u32 s16, s54, s86                                    // 000000004398: 80105636
	s_addc_u32 s17, 0, s87                                     // 00000000439C: 82115780
	s_mov_b32 s71, s6                                          // 0000000043A0: BEC70006
	v_lshrrev_b32_e32 v32, 4, v0                               // 0000000043A4: 20400084
	v_and_b32_e32 v33, 1, v32                                  // 0000000043A8: 26424081
	v_lshlrev_b32_e32 v33, 1, v33                              // 0000000043AC: 24424281
	v_mul_i32_i24_e32 v33, s71, v33                            // 0000000043B0: 0C424247
	v_and_b32_e32 v34, 2, v32                                  // 0000000043B4: 26444082
	v_lshlrev_b32_e32 v34, 5, v34                              // 0000000043B8: 24444485
	v_add_u32_e32 v33, v34, v33                                // 0000000043BC: 68424322
	v_and_b32_e32 v32, 15, v0                                  // 0000000043C0: 2640008F
	v_lshlrev_b32_e32 v32, 2, v32                              // 0000000043C4: 24404082
	v_add_u32_e32 v1, v32, v33                                 // 0000000043C8: 68024320
	s_mul_i32 s60, s46, s71                                    // 0000000043CC: 923C472E
	s_mul_i32 s60, s60, 4                                      // 0000000043D0: 923C843C
	v_add_u32_e32 v1, s60, v1                                  // 0000000043D4: 6802023C
	v_add_u32_e32 v2, s71, v1                                  // 0000000043D8: 68040247
	s_mul_i32 s60, 16, s71                                     // 0000000043DC: 923C4790
	v_add_u32_e32 v3, s60, v1                                  // 0000000043E0: 6806023C
	v_add_u32_e32 v4, s60, v2                                  // 0000000043E4: 6808043C
	s_mov_b32 s71, s7                                          // 0000000043E8: BEC70007
	v_lshrrev_b32_e32 v32, 4, v0                               // 0000000043EC: 20400084
	v_and_b32_e32 v33, 1, v32                                  // 0000000043F0: 26424081
	v_lshlrev_b32_e32 v33, 1, v33                              // 0000000043F4: 24424281
	v_mul_i32_i24_e32 v33, s71, v33                            // 0000000043F8: 0C424247
	v_and_b32_e32 v34, 2, v32                                  // 0000000043FC: 26444082
	v_lshlrev_b32_e32 v34, 5, v34                              // 000000004400: 24444485
	v_add_u32_e32 v33, v34, v33                                // 000000004404: 68424322
	v_and_b32_e32 v32, 15, v0                                  // 000000004408: 2640008F
	v_lshlrev_b32_e32 v32, 2, v32                              // 00000000440C: 24404082
	v_add_u32_e32 v232, v32, v33                               // 000000004410: 69D04320
	s_mul_i32 s60, s46, s71                                    // 000000004414: 923C472E
	s_mul_i32 s60, s60, 4                                      // 000000004418: 923C843C
	v_add_u32_e32 v232, s60, v232                              // 00000000441C: 69D1D03C
	v_add_u32_e32 v233, s71, v232                              // 000000004420: 69D3D047
	s_mul_i32 s60, 16, s71                                     // 000000004424: 923C4790
	v_add_u32_e32 v234, s60, v232                              // 000000004428: 69D5D03C
	v_add_u32_e32 v235, s60, v233                              // 00000000442C: 69D7D23C
	v_lshrrev_b32_e32 v1, 2, v1                                // 000000004430: 20020282
	v_lshrrev_b32_e32 v2, 2, v2                                // 000000004434: 20040482
	v_lshrrev_b32_e32 v232, 2, v232                            // 000000004438: 21D1D082
	v_lshrrev_b32_e32 v233, 2, v233                            // 00000000443C: 21D3D282
	s_mov_b32 s70, s52                                         // 000000004440: BEC60034
	v_lshrrev_b32_e32 v32, 3, v0                               // 000000004444: 20400083
	v_mul_i32_i24_e32 v5, s70, v32                             // 000000004448: 0C0A4046
	v_lshrrev_b32_e32 v5, 2, v5                                // 00000000444C: 200A0A82
	v_and_b32_e32 v32, 7, v0                                   // 000000004450: 26400087
	v_lshlrev_b32_e32 v33, 2, v32                              // 000000004454: 24424082
	v_add_u32_e32 v5, v33, v5                                  // 000000004458: 680A0B21
	s_mul_i32 s60, 16, s70                                     // 00000000445C: 923C4690
	s_mul_i32 s60, s46, s60                                    // 000000004460: 923C3C2E
	v_lshlrev_b32_e32 v5, 2, v5                                // 000000004464: 240A0A82
	v_add_u32_e32 v5, s60, v5                                  // 000000004468: 680A0A3C
	s_mul_i32 s60, s52, s59                                    // 00000000446C: 923C3B34
	v_add_u32_e32 v5, s60, v5                                  // 000000004470: 680A0A3C
	v_lshrrev_b32_e32 v5, 2, v5                                // 000000004474: 200A0A82
	s_mov_b32 s70, s53                                         // 000000004478: BEC60035
	v_lshrrev_b32_e32 v32, 3, v0                               // 00000000447C: 20400083
	v_mul_i32_i24_e32 v10, s70, v32                            // 000000004480: 0C144046
	v_lshrrev_b32_e32 v10, 2, v10                              // 000000004484: 20141482
	v_and_b32_e32 v32, 7, v0                                   // 000000004488: 26400087
	v_lshlrev_b32_e32 v33, 2, v32                              // 00000000448C: 24424082
	v_add_u32_e32 v10, v33, v10                                // 000000004490: 68141521
	s_mul_i32 s60, 16, s70                                     // 000000004494: 923C4690
	s_mul_i32 s60, s46, s60                                    // 000000004498: 923C3C2E
	v_lshlrev_b32_e32 v10, 2, v10                              // 00000000449C: 24141482
	v_add_u32_e32 v10, s60, v10                                // 0000000044A0: 6814143C
	s_mul_i32 s60, s53, s59                                    // 0000000044A4: 923C3B35
	v_add_u32_e32 v10, s60, v10                                // 0000000044A8: 6814143C
	v_lshrrev_b32_e32 v10, 2, v10                              // 0000000044AC: 20141482
	s_cmp_ge_i32 s59, s49                                      // 0000000044B0: BF03313B
	s_cselect_b32 s59, s49, s59                                // 0000000044B4: 853B3B31
	s_add_u32 s73, 32, s59                                     // 0000000044B8: 80493BA0
	s_mul_i32 s55, s5, s59                                     // 0000000044BC: 92373B05
	s_sub_i32 s61, s49, s59                                    // 0000000044C0: 81BD3B31
	s_mul_i32 s62, s5, s61                                     // 0000000044C4: 923E3D05
	s_lshr_b32 s62, s62, 2                                     // 0000000044C8: 8F3E823E
	s_mov_b32 s10, s62                                         // 0000000044CC: BE8A003E
	s_add_u32 s8, s55, s82                                     // 0000000044D0: 80085237
	s_addc_u32 s9, 0, s83                                      // 0000000044D4: 82095380
	s_mul_i32 s56, s51, s59                                    // 0000000044D8: 92383B33
	s_mul_i32 s62, s51, s61                                    // 0000000044DC: 923E3D33
	s_lshr_b32 s62, s62, 2                                     // 0000000044E0: 8F3E823E
	s_mov_b32 s22, s62                                         // 0000000044E4: BE96003E
	s_add_u32 s20, s56, s88                                    // 0000000044E8: 80145838
	s_addc_u32 s21, 0, s89                                     // 0000000044EC: 82155980
	s_mul_i32 s65, s59, 4                                      // 0000000044F0: 9241843B
	v_and_b32_e32 v11, 31, v0                                  // 0000000044F4: 2616009F
	v_lshlrev_b32_e32 v11, 2, v11                              // 0000000044F8: 24161682
	v_add_u32_e32 v11, s65, v11                                // 0000000044FC: 68161641
	v_lshrrev_b32_e32 v11, 2, v11                              // 000000004500: 20161682
	v_lshrrev_b32_e32 v32, 5, v0                               // 000000004504: 20400085
	v_mul_i32_i24_e32 v6, 0x80, v32                            // 000000004508: 0C0C40FF 00000080
	v_and_b32_e32 v32, 31, v0                                  // 000000004510: 2640009F
	v_add_u32_e32 v6, v32, v6                                  // 000000004514: 680C0D20
	s_mul_i32 s60, s46, 0x100                                  // 000000004518: 923CFF2E 00000100
	v_add_u32_e32 v6, s60, v6                                  // 000000004520: 680C0C3C
	v_lshlrev_b32_e32 v6, 2, v6                                // 000000004524: 240C0C82
	v_add_u32_e32 v7, 0x100, v6                                // 000000004528: 680E0CFF 00000100
	v_add_u32_e32 v8, 0x1000, v6                               // 000000004530: 68100CFF 00001000
	v_add_u32_e32 v9, 0x1000, v7                               // 000000004538: 68120EFF 00001000
	s_mul_i32 s60, 64, s65                                     // 000000004540: 923C41C0
	v_add_u32_e32 v6, s60, v6                                  // 000000004544: 680C0C3C
	v_lshrrev_b32_e32 v6, 2, v6                                // 000000004548: 200C0C82
	v_add_u32_e32 v7, s60, v7                                  // 00000000454C: 680E0E3C
	v_lshrrev_b32_e32 v7, 2, v7                                // 000000004550: 200E0E82
	v_add_u32_e32 v8, s60, v8                                  // 000000004554: 6810103C
	v_lshrrev_b32_e32 v8, 2, v8                                // 000000004558: 20101082
	v_add_u32_e32 v9, s60, v9                                  // 00000000455C: 6812123C
	v_lshrrev_b32_e32 v9, 2, v9                                // 000000004560: 20121282
	s_mul_i32 s60, 3, s2                                       // 000000004564: 923C0283
	s_add_u32 s61, s50, 63                                     // 000000004568: 803DBF32
	s_lshr_b32 s61, s61, 6                                     // 00000000456C: 8F3D863D
	s_sub_i32 s72, s61, s60                                    // 000000004570: 81C83C3D
	s_cmp_lt_i32 s72, 3                                        // 000000004574: BF048348
	s_cselect_b32 s72, s72, 3                                  // 000000004578: 85488348
	s_mul_i32 s60, 0xc0, s2                                    // 00000000457C: 923C02FF 000000C0
	s_sub_i32 s101, s50, s60                                   // 000000004584: 81E53C32
	v_and_b32_e32 v32, 31, v0                                  // 000000004588: 2640009F
	v_lshrrev_b32_e32 v32, 1, v32                              // 00000000458C: 20404081
	v_and_b32_e32 v33, 1, v32                                  // 000000004590: 26424081
	v_lshlrev_b32_e32 v33, 4, v33                              // 000000004594: 24424284
	v_and_b32_e32 v34, 2, v32                                  // 000000004598: 26444082
	v_lshlrev_b32_e32 v34, 2, v34                              // 00000000459C: 24444482
	v_add_u32_e32 v33, v34, v33                                // 0000000045A0: 68424322
	v_and_b32_e32 v34, 12, v32                                 // 0000000045A4: 2644408C
	v_lshrrev_b32_e32 v34, 1, v34                              // 0000000045A8: 20444481
	v_add_u32_e32 v33, v34, v33                                // 0000000045AC: 68424322
	v_lshrrev_b32_e32 v32, 5, v0                               // 0000000045B0: 20400085
	v_mul_i32_i24_e32 v34, 0x80, v32                           // 0000000045B4: 0C4440FF 00000080
	v_add_u32_e32 v33, v34, v33                                // 0000000045BC: 68424322
	v_and_b32_e32 v34, 1, v0                                   // 0000000045C0: 26440081
	v_add_u32_e32 v13, v34, v33                                // 0000000045C4: 681A4322
	s_mul_i32 s60, s46, 32                                     // 0000000045C8: 923CA02E
	v_add_u32_e32 v13, s60, v13                                // 0000000045CC: 681A1A3C
	v_lshlrev_b32_e32 v13, 2, v13                              // 0000000045D0: 241A1A82
	v_lshrrev_b32_e32 v32, 4, v0                               // 0000000045D4: 20400084
	v_and_b32_e32 v33, 1, v32                                  // 0000000045D8: 26424081
	v_lshlrev_b32_e32 v33, 4, v33                              // 0000000045DC: 24424284
	v_and_b32_e32 v34, 2, v32                                  // 0000000045E0: 26444082
	v_mul_i32_i24_e32 v34, 4, v34                              // 0000000045E4: 0C444484
	v_add_u32_e32 v33, v34, v33                                // 0000000045E8: 68424322
	v_and_b32_e32 v32, 15, v0                                  // 0000000045EC: 2640008F
	v_lshrrev_b32_e32 v34, 2, v32                              // 0000000045F0: 20444082
	v_lshlrev_b32_e32 v34, 5, v34                              // 0000000045F4: 24444485
	v_add_u32_e32 v33, v34, v33                                // 0000000045F8: 68424322
	v_and_b32_e32 v32, 3, v0                                   // 0000000045FC: 26400083
	v_and_b32_e32 v34, 1, v32                                  // 000000004600: 26444081
	v_mul_i32_i24_e32 v34, 0x108, v34                          // 000000004604: 0C4444FF 00000108
	v_add_u32_e32 v33, v34, v33                                // 00000000460C: 68424322
	v_and_b32_e32 v34, 2, v32                                  // 000000004610: 26444082
	v_lshlrev_b32_e32 v34, 1, v34                              // 000000004614: 24444481
	v_add_u32_e32 v12, v34, v33                                // 000000004618: 68184322
	v_lshlrev_b32_e32 v12, 2, v12                              // 00000000461C: 24181882
	s_mul_i32 s60, s46, 0x880                                  // 000000004620: 923CFF2E 00000880
	v_add_u32_e32 v24, s60, v12                                // 000000004628: 6830183C
	v_lshrrev_b32_e32 v32, 5, v0                               // 00000000462C: 20400085
	v_mul_i32_i24_e32 v15, 0x80, v32                           // 000000004630: 0C1E40FF 00000080
	v_and_b32_e32 v32, 31, v0                                  // 000000004638: 2640009F
	v_and_b32_e32 v33, 7, v32                                  // 00000000463C: 26424087
	v_and_b32_e32 v34, 1, v33                                  // 000000004640: 26444281
	v_lshlrev_b32_e32 v34, 2, v34                              // 000000004644: 24444482
	v_add_u32_e32 v15, v34, v15                                // 000000004648: 681E1F22
	v_and_b32_e32 v34, 2, v33                                  // 00000000464C: 26444282
	v_lshlrev_b32_e32 v34, 3, v34                              // 000000004650: 24444483
	v_add_u32_e32 v15, v34, v15                                // 000000004654: 681E1F22
	v_and_b32_e32 v34, 4, v33                                  // 000000004658: 26444284
	v_lshlrev_b32_e32 v34, 1, v34                              // 00000000465C: 24444481
	v_add_u32_e32 v15, v34, v15                                // 000000004660: 681E1F22
	v_lshrrev_b32_e32 v33, 3, v32                              // 000000004664: 20424083
	v_and_b32_e32 v34, 1, v33                                  // 000000004668: 26444281
	v_lshlrev_b32_e32 v34, 1, v34                              // 00000000466C: 24444481
	v_add_u32_e32 v15, v34, v15                                // 000000004670: 681E1F22
	v_and_b32_e32 v34, 2, v33                                  // 000000004674: 26444282
	v_lshrrev_b32_e32 v34, 1, v34                              // 000000004678: 20444481
	v_add_u32_e32 v15, v34, v15                                // 00000000467C: 681E1F22
	s_mul_i32 s60, s46, 32                                     // 000000004680: 923CA02E
	v_add_u32_e32 v15, s60, v15                                // 000000004684: 681E1E3C
	v_lshlrev_b32_e32 v15, 2, v15                              // 000000004688: 241E1E82
	v_and_b32_e32 v32, 15, v0                                  // 00000000468C: 2640008F
	v_and_b32_e32 v34, 1, v32                                  // 000000004690: 26444081
	v_mul_i32_i24_e32 v14, 0x108, v34                          // 000000004694: 0C1C44FF 00000108
	v_and_b32_e32 v34, 2, v32                                  // 00000000469C: 26444082
	v_lshlrev_b32_e32 v34, 1, v34                              // 0000000046A0: 24444481
	v_add_u32_e32 v14, v34, v14                                // 0000000046A4: 681C1D22
	v_and_b32_e32 v34, 4, v32                                  // 0000000046A8: 26444084
	v_lshlrev_b32_e32 v34, 2, v34                              // 0000000046AC: 24444482
	v_add_u32_e32 v14, v34, v14                                // 0000000046B0: 681C1D22
	v_and_b32_e32 v34, 8, v32                                  // 0000000046B4: 26444088
	v_add_u32_e32 v14, v34, v14                                // 0000000046B8: 681C1D22
	v_lshrrev_b32_e32 v32, 4, v0                               // 0000000046BC: 20400084
	v_and_b32_e32 v34, 1, v32                                  // 0000000046C0: 26444081
	v_lshlrev_b32_e32 v34, 5, v34                              // 0000000046C4: 24444485
	v_add_u32_e32 v14, v34, v14                                // 0000000046C8: 681C1D22
	v_and_b32_e32 v33, 2, v32                                  // 0000000046CC: 26424082
	v_mul_i32_i24_e32 v34, 32, v33                             // 0000000046D0: 0C4442A0
	v_mul_i32_i24_e32 v33, 0x110, v33                          // 0000000046D4: 0C4242FF 00000110
	v_add_u32_e32 v25, v33, v14                                // 0000000046DC: 68321D21
	v_add_u32_e32 v14, v34, v14                                // 0000000046E0: 681C1D22
	v_lshlrev_b32_e32 v14, 2, v14                              // 0000000046E4: 241C1C82
	v_lshlrev_b32_e32 v25, 2, v25                              // 0000000046E8: 24323282
	s_and_b32 s60, 1, s46                                      // 0000000046EC: 863C2E81
	s_mul_i32 s60, s60, 0x200                                  // 0000000046F0: 923CFF3C 00000200
	v_add_u32_e32 v25, s60, v25                                // 0000000046F8: 6832323C
	v_lshrrev_b32_e32 v32, 4, v0                               // 0000000046FC: 20400084
	v_mul_i32_i24_e32 v23, 4, v32                              // 000000004700: 0C2E4084
	v_and_b32_e32 v33, 3, v0                                   // 000000004704: 26420083
	v_add_u32_e32 v23, v33, v23                                // 000000004708: 682E2F21
	v_lshlrev_b32_e32 v23, 2, v23                              // 00000000470C: 242E2E82
	v_lshrrev_b32_e32 v32, 4, v0                               // 000000004710: 20400084
	v_and_b32_e32 v33, 1, v32                                  // 000000004714: 26424081
	v_mul_i32_i24_e32 v21, 0x100, v33                          // 000000004718: 0C2A42FF 00000100
	v_and_b32_e32 v33, 2, v32                                  // 000000004720: 26424082
	v_mul_i32_i24_e32 v33, 64, v33                             // 000000004724: 0C4242C0
	v_add_u32_e32 v21, v33, v21                                // 000000004728: 682A2B21
	v_and_b32_e32 v32, 15, v0                                  // 00000000472C: 2640008F
	v_mul_i32_i24_e32 v33, 2, v32                              // 000000004730: 0C424082
	v_add_u32_e32 v21, v33, v21                                // 000000004734: 682A2B21
	s_mul_i32 s60, s46, 32                                     // 000000004738: 923CA02E
	v_add_u32_e32 v21, s60, v21                                // 00000000473C: 682A2A3C
	v_lshlrev_b32_e32 v21, 2, v21                              // 000000004740: 242A2A82
	v_lshlrev_b32_e32 v22, 1, v0                               // 000000004744: 242C0081
	s_mul_i32 s60, s46, 0x200                                  // 000000004748: 923CFF2E 00000200
	v_add_u32_e32 v22, s60, v22                                // 000000004750: 682C2C3C
	v_lshlrev_b32_e32 v22, 2, v22                              // 000000004754: 242C2C82
	v_lshrrev_b32_e32 v32, 5, v0                               // 000000004758: 20400085
	v_mul_i32_i24_e32 v19, 64, v32                             // 00000000475C: 0C2640C0
	v_and_b32_e32 v32, 31, v0                                  // 000000004760: 2640009F
	v_and_b32_e32 v32, 3, v32                                  // 000000004764: 26404083
	v_and_b32_e32 v33, 1, v32                                  // 000000004768: 26424081
	v_mul_i32_i24_e32 v33, 4, v33                              // 00000000476C: 0C424284
	v_add_u32_e32 v19, v33, v19                                // 000000004770: 68262721
	v_and_b32_e32 v33, 2, v32                                  // 000000004774: 26424082
	v_mul_i32_i24_e32 v33, 0x44, v33                           // 000000004778: 0C4242FF 00000044
	v_add_u32_e32 v19, v33, v19                                // 000000004780: 68262721
	v_and_b32_e32 v32, 31, v0                                  // 000000004784: 2640009F
	v_lshrrev_b32_e32 v32, 2, v32                              // 000000004788: 20404082
	v_lshrrev_b32_e32 v34, 2, v32                              // 00000000478C: 20444082
	v_mul_i32_i24_e32 v33, 16, v34                             // 000000004790: 0C424490
	v_add_u32_e32 v19, v33, v19                                // 000000004794: 68262721
	v_and_b32_e32 v33, 2, v32                                  // 000000004798: 26424082
	v_lshlrev_b32_e32 v33, 4, v33                              // 00000000479C: 24424284
	v_add_u32_e32 v19, v33, v19                                // 0000000047A0: 68262721
	v_and_b32_e32 v33, 1, v32                                  // 0000000047A4: 26424081
	v_xor_b32_e32 v33, v34, v33                                // 0000000047A8: 2A424322
	v_mul_i32_i24_e32 v33, 8, v33                              // 0000000047AC: 0C424288
	v_add_u32_e32 v19, v33, v19                                // 0000000047B0: 68262721
	s_lshr_b32 s60, s46, 1                                     // 0000000047B4: 8F3C812E
	s_mul_i32 s60, s60, 0x6c0                                  // 0000000047B8: 923CFF3C 000006C0
	v_add_u32_e32 v19, s60, v19                                // 0000000047C0: 6826263C
	v_lshlrev_b32_e32 v19, 2, v19                              // 0000000047C4: 24262682
	v_lshrrev_b32_e32 v32, 5, v0                               // 0000000047C8: 20400085
	v_mul_i32_i24_e32 v20, 32, v32                             // 0000000047CC: 0C2840A0
	v_and_b32_e32 v32, 31, v0                                  // 0000000047D0: 2640009F
	v_and_b32_e32 v32, 3, v32                                  // 0000000047D4: 26404083
	v_and_b32_e32 v33, 1, v32                                  // 0000000047D8: 26424081
	v_mul_i32_i24_e32 v33, 4, v33                              // 0000000047DC: 0C424284
	v_add_u32_e32 v20, v33, v20                                // 0000000047E0: 68282921
	v_and_b32_e32 v33, 2, v32                                  // 0000000047E4: 26424082
	v_lshrrev_b32_e32 v33, 1, v33                              // 0000000047E8: 20424281
	v_add_u32_e32 v20, v33, v20                                // 0000000047EC: 68282921
	v_and_b32_e32 v32, 31, v0                                  // 0000000047F0: 2640009F
	v_lshrrev_b32_e32 v32, 2, v32                              // 0000000047F4: 20404082
	v_and_b32_e32 v34, 1, v32                                  // 0000000047F8: 26444081
	v_mul_i32_i24_e32 v33, 16, v34                             // 0000000047FC: 0C424490
	v_add_u32_e32 v20, v33, v20                                // 000000004800: 68282921
	v_and_b32_e32 v33, 2, v32                                  // 000000004804: 26424082
	v_add_u32_e32 v20, v33, v20                                // 000000004808: 68282921
	v_lshrrev_b32_e32 v33, 2, v32                              // 00000000480C: 20424082
	v_xor_b32_e32 v33, v34, v33                                // 000000004810: 2A424322
	v_mul_i32_i24_e32 v33, 8, v33                              // 000000004814: 0C424288
	v_add_u32_e32 v20, v33, v20                                // 000000004818: 68282921
	s_and_b32 s60, 1, s46                                      // 00000000481C: 863C2E81
	s_mul_i32 s60, s60, 64                                     // 000000004820: 923CC03C
	s_lshr_b32 s61, s46, 1                                     // 000000004824: 8F3D812E
	s_mul_i32 s61, s61, 0x120                                  // 000000004828: 923DFF3D 00000120
	s_add_u32 s60, s60, s61                                    // 000000004830: 803C3D3C
	v_add_u32_e32 v20, s60, v20                                // 000000004834: 6828283C
	v_lshlrev_b32_e32 v20, 2, v20                              // 000000004838: 24282882
	buffer_load_dword v180, v1, s[12:15], 0 idxen              // 00000000483C: E0502000 8003B401
	buffer_load_dword v181, v2, s[12:15], 0 idxen              // 000000004844: E0502000 8003B502
	s_mul_i32 s60, 4, s6                                       // 00000000484C: 923C0684
	s_cmp_lt_i32 0, s72                                        // 000000004850: BF044880
	s_cselect_b32 s60, s60, 0                                  // 000000004854: 853C803C
	v_add_u32_e32 v1, s60, v1                                  // 000000004858: 6802023C
	v_add_u32_e32 v2, s60, v2                                  // 00000000485C: 6804043C
	buffer_load_dword v182, v1, s[12:15], 0 idxen              // 000000004860: E0502000 8003B601
	buffer_load_dword v183, v2, s[12:15], 0 idxen              // 000000004868: E0502000 8003B702
	s_mul_i32 s60, 4, s6                                       // 000000004870: 923C0684
	s_cmp_lt_i32 0, s72                                        // 000000004874: BF044880
	s_cselect_b32 s60, s60, 0                                  // 000000004878: 853C803C
	v_add_u32_e32 v1, s60, v1                                  // 00000000487C: 6802023C
	v_add_u32_e32 v2, s60, v2                                  // 000000004880: 6804043C
	buffer_load_dword v184, v1, s[12:15], 0 idxen              // 000000004884: E0502000 8003B801
	buffer_load_dword v185, v2, s[12:15], 0 idxen              // 00000000488C: E0502000 8003B902
	s_mul_i32 s60, 4, s6                                       // 000000004894: 923C0684
	s_cmp_lt_i32 0, s72                                        // 000000004898: BF044880
	s_cselect_b32 s60, s60, 0                                  // 00000000489C: 853C803C
	v_add_u32_e32 v1, s60, v1                                  // 0000000048A0: 6802023C
	v_add_u32_e32 v2, s60, v2                                  // 0000000048A4: 6804043C
	buffer_load_dword v186, v1, s[12:15], 0 idxen              // 0000000048A8: E0502000 8003BA01
	buffer_load_dword v187, v2, s[12:15], 0 idxen              // 0000000048B0: E0502000 8003BB02
	s_mul_i32 s60, 4, s6                                       // 0000000048B8: 923C0684
	s_cmp_lt_i32 1, s72                                        // 0000000048BC: BF044881
	s_cselect_b32 s60, s60, 0                                  // 0000000048C0: 853C803C
	v_add_u32_e32 v1, s60, v1                                  // 0000000048C4: 6802023C
	v_add_u32_e32 v2, s60, v2                                  // 0000000048C8: 6804043C
	buffer_load_dword v188, v1, s[12:15], 0 idxen              // 0000000048CC: E0502000 8003BC01
	buffer_load_dword v189, v2, s[12:15], 0 idxen              // 0000000048D4: E0502000 8003BD02
	s_mul_i32 s60, 4, s6                                       // 0000000048DC: 923C0684
	s_cmp_lt_i32 1, s72                                        // 0000000048E0: BF044881
	s_cselect_b32 s60, s60, 0                                  // 0000000048E4: 853C803C
	v_add_u32_e32 v1, s60, v1                                  // 0000000048E8: 6802023C
	v_add_u32_e32 v2, s60, v2                                  // 0000000048EC: 6804043C
	buffer_load_dword v190, v1, s[12:15], 0 idxen              // 0000000048F0: E0502000 8003BE01
	buffer_load_dword v191, v2, s[12:15], 0 idxen              // 0000000048F8: E0502000 8003BF02
	s_mul_i32 s60, 4, s6                                       // 000000004900: 923C0684
	s_cmp_lt_i32 1, s72                                        // 000000004904: BF044881
	s_cselect_b32 s60, s60, 0                                  // 000000004908: 853C803C
	v_add_u32_e32 v1, s60, v1                                  // 00000000490C: 6802023C
	v_add_u32_e32 v2, s60, v2                                  // 000000004910: 6804043C
	buffer_load_dword v192, v1, s[12:15], 0 idxen              // 000000004914: E0502000 8003C001
	buffer_load_dword v193, v2, s[12:15], 0 idxen              // 00000000491C: E0502000 8003C102
	s_mul_i32 s60, 4, s6                                       // 000000004924: 923C0684
	s_cmp_lt_i32 1, s72                                        // 000000004928: BF044881
	s_cselect_b32 s60, s60, 0                                  // 00000000492C: 853C803C
	v_add_u32_e32 v1, s60, v1                                  // 000000004930: 6802023C
	v_add_u32_e32 v2, s60, v2                                  // 000000004934: 6804043C
	buffer_load_dword v194, v1, s[12:15], 0 idxen              // 000000004938: E0502000 8003C201
	buffer_load_dword v195, v2, s[12:15], 0 idxen              // 000000004940: E0502000 8003C302
	s_mul_i32 s60, 4, s6                                       // 000000004948: 923C0684
	s_cmp_lt_i32 2, s72                                        // 00000000494C: BF044882
	s_cselect_b32 s60, s60, 0                                  // 000000004950: 853C803C
	v_add_u32_e32 v1, s60, v1                                  // 000000004954: 6802023C
	v_add_u32_e32 v2, s60, v2                                  // 000000004958: 6804043C
	buffer_load_dword v196, v1, s[12:15], 0 idxen              // 00000000495C: E0502000 8003C401
	buffer_load_dword v197, v2, s[12:15], 0 idxen              // 000000004964: E0502000 8003C502
	s_mul_i32 s60, 4, s6                                       // 00000000496C: 923C0684
	s_cmp_lt_i32 2, s72                                        // 000000004970: BF044882
	s_cselect_b32 s60, s60, 0                                  // 000000004974: 853C803C
	v_add_u32_e32 v1, s60, v1                                  // 000000004978: 6802023C
	v_add_u32_e32 v2, s60, v2                                  // 00000000497C: 6804043C
	buffer_load_dword v198, v1, s[12:15], 0 idxen              // 000000004980: E0502000 8003C601
	buffer_load_dword v199, v2, s[12:15], 0 idxen              // 000000004988: E0502000 8003C702
	s_mul_i32 s60, 4, s6                                       // 000000004990: 923C0684
	s_cmp_lt_i32 2, s72                                        // 000000004994: BF044882
	s_cselect_b32 s60, s60, 0                                  // 000000004998: 853C803C
	v_add_u32_e32 v1, s60, v1                                  // 00000000499C: 6802023C
	v_add_u32_e32 v2, s60, v2                                  // 0000000049A0: 6804043C
	buffer_load_dword v200, v1, s[12:15], 0 idxen              // 0000000049A4: E0502000 8003C801
	buffer_load_dword v201, v2, s[12:15], 0 idxen              // 0000000049AC: E0502000 8003C902
	s_mul_i32 s60, 4, s6                                       // 0000000049B4: 923C0684
	s_cmp_lt_i32 2, s72                                        // 0000000049B8: BF044882
	s_cselect_b32 s60, s60, 0                                  // 0000000049BC: 853C803C
	v_add_u32_e32 v1, s60, v1                                  // 0000000049C0: 6802023C
	v_add_u32_e32 v2, s60, v2                                  // 0000000049C4: 6804043C
	buffer_load_dword v202, v1, s[12:15], 0 idxen              // 0000000049C8: E0502000 8003CA01
	buffer_load_dword v203, v2, s[12:15], 0 idxen              // 0000000049D0: E0502000 8003CB02
	s_mul_i32 s60, 4, s6                                       // 0000000049D8: 923C0684
	s_cmp_lt_i32 3, s72                                        // 0000000049DC: BF044883
	s_cselect_b32 s60, s60, 0                                  // 0000000049E0: 853C803C
	v_add_u32_e32 v1, s60, v1                                  // 0000000049E4: 6802023C
	v_add_u32_e32 v2, s60, v2                                  // 0000000049E8: 6804043C
	s_waitcnt vmcnt(16) lgkmcnt(0)                             // 0000000049EC: BF8C4070
	s_barrier                                                  // 0000000049F0: BF8A0000
	s_cmp_lt_i32 0, s72                                        // 0000000049F4: BF044880
	s_cbranch_scc1 label_0307                                  // 0000000049F8: BF850008
	v_mov_b32_e32 v180, 0                                      // 0000000049FC: 7F680280
	v_mov_b32_e32 v181, 0                                      // 000000004A00: 7F6A0280
	v_mov_b32_e32 v182, 0                                      // 000000004A04: 7F6C0280
	v_mov_b32_e32 v183, 0                                      // 000000004A08: 7F6E0280
	v_mov_b32_e32 v184, 0                                      // 000000004A0C: 7F700280
	v_mov_b32_e32 v185, 0                                      // 000000004A10: 7F720280
	v_mov_b32_e32 v186, 0                                      // 000000004A14: 7F740280
	v_mov_b32_e32 v187, 0                                      // 000000004A18: 7F760280

0000000000004a1c <label_0307>:
	v_perm_b32 v204, v181, v180, s63                           // 000000004A1C: D1ED00CC 00FF69B5
	v_perm_b32 v205, v181, v180, s64                           // 000000004A24: D1ED00CD 010369B5
	v_perm_b32 v206, v183, v182, s63                           // 000000004A2C: D1ED00CE 00FF6DB7
	v_perm_b32 v207, v183, v182, s64                           // 000000004A34: D1ED00CF 01036DB7
	v_perm_b32 v208, v185, v184, s63                           // 000000004A3C: D1ED00D0 00FF71B9
	v_perm_b32 v209, v185, v184, s64                           // 000000004A44: D1ED00D1 010371B9
	v_perm_b32 v210, v187, v186, s63                           // 000000004A4C: D1ED00D2 00FF75BB
	v_perm_b32 v211, v187, v186, s64                           // 000000004A54: D1ED00D3 010375BB
	ds_write_b32 v15, v204 offset:8704                         // 000000004A5C: D81A2200 0000CC0F
	ds_write_b32 v15, v205 offset:9760                         // 000000004A64: D81A2620 0000CD0F
	ds_write_b32 v15, v206 offset:10880                        // 000000004A6C: D81A2A80 0000CE0F
	ds_write_b32 v15, v207 offset:11936                        // 000000004A74: D81A2EA0 0000CF0F
	ds_write_b32 v15, v208 offset:13056                        // 000000004A7C: D81A3300 0000D00F
	ds_write_b32 v15, v209 offset:14112                        // 000000004A84: D81A3720 0000D10F
	ds_write_b32 v15, v210 offset:15232                        // 000000004A8C: D81A3B80 0000D20F
	ds_write_b32 v15, v211 offset:16288                        // 000000004A94: D81A3FA0 0000D30F
	ds_write_b32 v13, v180                                     // 000000004A9C: D81A0000 0000B40D
	ds_write_b32 v13, v181 offset:1056                         // 000000004AA4: D81A0420 0000B50D
	ds_write_b32 v13, v182 offset:2176                         // 000000004AAC: D81A0880 0000B60D
	ds_write_b32 v13, v183 offset:3232                         // 000000004AB4: D81A0CA0 0000B70D
	ds_write_b32 v13, v184 offset:4352                         // 000000004ABC: D81A1100 0000B80D
	ds_write_b32 v13, v185 offset:5408                         // 000000004AC4: D81A1520 0000B90D
	ds_write_b32 v13, v186 offset:6528                         // 000000004ACC: D81A1980 0000BA0D
	ds_write_b32 v13, v187 offset:7584                         // 000000004AD4: D81A1DA0 0000BB0D
	buffer_load_dword v180, v232, s[16:19], 0 idxen            // 000000004ADC: E0502000 8004B4E8
	buffer_load_dword v181, v233, s[16:19], 0 idxen            // 000000004AE4: E0502000 8004B5E9
	s_mul_i32 s60, 4, s7                                       // 000000004AEC: 923C0784
	s_cmp_lt_i32 0, s72                                        // 000000004AF0: BF044880
	s_cselect_b32 s60, s60, 0                                  // 000000004AF4: 853C803C
	v_add_u32_e32 v232, s60, v232                              // 000000004AF8: 69D1D03C
	v_add_u32_e32 v233, s60, v233                              // 000000004AFC: 69D3D23C
	buffer_load_dword v182, v232, s[16:19], 0 idxen            // 000000004B00: E0502000 8004B6E8
	buffer_load_dword v183, v233, s[16:19], 0 idxen            // 000000004B08: E0502000 8004B7E9
	s_mul_i32 s60, 4, s7                                       // 000000004B10: 923C0784
	s_cmp_lt_i32 0, s72                                        // 000000004B14: BF044880
	s_cselect_b32 s60, s60, 0                                  // 000000004B18: 853C803C
	v_add_u32_e32 v232, s60, v232                              // 000000004B1C: 69D1D03C
	v_add_u32_e32 v233, s60, v233                              // 000000004B20: 69D3D23C
	buffer_load_dword v184, v232, s[16:19], 0 idxen            // 000000004B24: E0502000 8004B8E8
	buffer_load_dword v185, v233, s[16:19], 0 idxen            // 000000004B2C: E0502000 8004B9E9
	s_mul_i32 s60, 4, s7                                       // 000000004B34: 923C0784
	s_cmp_lt_i32 0, s72                                        // 000000004B38: BF044880
	s_cselect_b32 s60, s60, 0                                  // 000000004B3C: 853C803C
	v_add_u32_e32 v232, s60, v232                              // 000000004B40: 69D1D03C
	v_add_u32_e32 v233, s60, v233                              // 000000004B44: 69D3D23C
	buffer_load_dword v186, v232, s[16:19], 0 idxen            // 000000004B48: E0502000 8004BAE8
	buffer_load_dword v187, v233, s[16:19], 0 idxen            // 000000004B50: E0502000 8004BBE9
	s_mul_i32 s60, 4, s7                                       // 000000004B58: 923C0784
	s_cmp_lt_i32 1, s72                                        // 000000004B5C: BF044881
	s_cselect_b32 s60, s60, 0                                  // 000000004B60: 853C803C
	v_add_u32_e32 v232, s60, v232                              // 000000004B64: 69D1D03C
	v_add_u32_e32 v233, s60, v233                              // 000000004B68: 69D3D23C
	s_waitcnt lgkmcnt(0)                                       // 000000004B6C: BF8CC07F
	s_barrier                                                  // 000000004B70: BF8A0000
	ds_read_b128 a[24:27], v25 offset:8704                     // 000000004B74: DBFE2200 18000019
	ds_read_b128 a[28:31], v25 offset:8960                     // 000000004B7C: DBFE2300 1C000019
	ds_read_b128 a[32:35], v25 offset:13056                    // 000000004B84: DBFE3300 20000019
	ds_read_b128 a[36:39], v25 offset:13312                    // 000000004B8C: DBFE3400 24000019
	ds_read_b128 a[0:3], v24                                   // 000000004B94: DBFE0000 00000018
	ds_read_b128 a[4:7], v24 offset:512                        // 000000004B9C: DBFE0200 04000018
	s_waitcnt vmcnt(16) lgkmcnt(0)                             // 000000004BA4: BF8C4070
	s_barrier                                                  // 000000004BA8: BF8A0000
	s_cmp_lt_i32 1, s72                                        // 000000004BAC: BF044881
	s_cbranch_scc1 label_0375                                  // 000000004BB0: BF850008
	v_mov_b32_e32 v188, 0                                      // 000000004BB4: 7F780280
	v_mov_b32_e32 v189, 0                                      // 000000004BB8: 7F7A0280
	v_mov_b32_e32 v190, 0                                      // 000000004BBC: 7F7C0280
	v_mov_b32_e32 v191, 0                                      // 000000004BC0: 7F7E0280
	v_mov_b32_e32 v192, 0                                      // 000000004BC4: 7F800280
	v_mov_b32_e32 v193, 0                                      // 000000004BC8: 7F820280
	v_mov_b32_e32 v194, 0                                      // 000000004BCC: 7F840280
	v_mov_b32_e32 v195, 0                                      // 000000004BD0: 7F860280

0000000000004bd4 <label_0375>:
	v_perm_b32 v204, v189, v188, s63                           // 000000004BD4: D1ED00CC 00FF79BD
	v_perm_b32 v205, v189, v188, s64                           // 000000004BDC: D1ED00CD 010379BD
	v_perm_b32 v206, v191, v190, s63                           // 000000004BE4: D1ED00CE 00FF7DBF
	v_perm_b32 v207, v191, v190, s64                           // 000000004BEC: D1ED00CF 01037DBF
	v_perm_b32 v208, v193, v192, s63                           // 000000004BF4: D1ED00D0 00FF81C1
	v_perm_b32 v209, v193, v192, s64                           // 000000004BFC: D1ED00D1 010381C1
	v_perm_b32 v210, v195, v194, s63                           // 000000004C04: D1ED00D2 00FF85C3
	v_perm_b32 v211, v195, v194, s64                           // 000000004C0C: D1ED00D3 010385C3
	ds_write_b32 v15, v204 offset:8704                         // 000000004C14: D81A2200 0000CC0F
	ds_write_b32 v15, v205 offset:9760                         // 000000004C1C: D81A2620 0000CD0F
	ds_write_b32 v15, v206 offset:10880                        // 000000004C24: D81A2A80 0000CE0F
	ds_write_b32 v15, v207 offset:11936                        // 000000004C2C: D81A2EA0 0000CF0F
	ds_write_b32 v15, v208 offset:13056                        // 000000004C34: D81A3300 0000D00F
	ds_write_b32 v15, v209 offset:14112                        // 000000004C3C: D81A3720 0000D10F
	ds_write_b32 v15, v210 offset:15232                        // 000000004C44: D81A3B80 0000D20F
	ds_write_b32 v15, v211 offset:16288                        // 000000004C4C: D81A3FA0 0000D30F
	ds_write_b32 v13, v188                                     // 000000004C54: D81A0000 0000BC0D
	ds_write_b32 v13, v189 offset:1056                         // 000000004C5C: D81A0420 0000BD0D
	ds_write_b32 v13, v190 offset:2176                         // 000000004C64: D81A0880 0000BE0D
	ds_write_b32 v13, v191 offset:3232                         // 000000004C6C: D81A0CA0 0000BF0D
	ds_write_b32 v13, v192 offset:4352                         // 000000004C74: D81A1100 0000C00D
	ds_write_b32 v13, v193 offset:5408                         // 000000004C7C: D81A1520 0000C10D
	ds_write_b32 v13, v194 offset:6528                         // 000000004C84: D81A1980 0000C20D
	ds_write_b32 v13, v195 offset:7584                         // 000000004C8C: D81A1DA0 0000C30D
	buffer_load_dword v188, v232, s[16:19], 0 idxen            // 000000004C94: E0502000 8004BCE8
	buffer_load_dword v189, v233, s[16:19], 0 idxen            // 000000004C9C: E0502000 8004BDE9
	s_mul_i32 s60, 4, s7                                       // 000000004CA4: 923C0784
	s_cmp_lt_i32 1, s72                                        // 000000004CA8: BF044881
	s_cselect_b32 s60, s60, 0                                  // 000000004CAC: 853C803C
	v_add_u32_e32 v232, s60, v232                              // 000000004CB0: 69D1D03C
	v_add_u32_e32 v233, s60, v233                              // 000000004CB4: 69D3D23C
	buffer_load_dword v190, v232, s[16:19], 0 idxen            // 000000004CB8: E0502000 8004BEE8
	buffer_load_dword v191, v233, s[16:19], 0 idxen            // 000000004CC0: E0502000 8004BFE9
	s_mul_i32 s60, 4, s7                                       // 000000004CC8: 923C0784
	s_cmp_lt_i32 1, s72                                        // 000000004CCC: BF044881
	s_cselect_b32 s60, s60, 0                                  // 000000004CD0: 853C803C
	v_add_u32_e32 v232, s60, v232                              // 000000004CD4: 69D1D03C
	v_add_u32_e32 v233, s60, v233                              // 000000004CD8: 69D3D23C
	buffer_load_dword v192, v232, s[16:19], 0 idxen            // 000000004CDC: E0502000 8004C0E8
	buffer_load_dword v193, v233, s[16:19], 0 idxen            // 000000004CE4: E0502000 8004C1E9
	s_mul_i32 s60, 4, s7                                       // 000000004CEC: 923C0784
	s_cmp_lt_i32 1, s72                                        // 000000004CF0: BF044881
	s_cselect_b32 s60, s60, 0                                  // 000000004CF4: 853C803C
	v_add_u32_e32 v232, s60, v232                              // 000000004CF8: 69D1D03C
	v_add_u32_e32 v233, s60, v233                              // 000000004CFC: 69D3D23C
	buffer_load_dword v194, v232, s[16:19], 0 idxen            // 000000004D00: E0502000 8004C2E8
	buffer_load_dword v195, v233, s[16:19], 0 idxen            // 000000004D08: E0502000 8004C3E9
	s_mul_i32 s60, 4, s7                                       // 000000004D10: 923C0784
	s_cmp_lt_i32 2, s72                                        // 000000004D14: BF044882
	s_cselect_b32 s60, s60, 0                                  // 000000004D18: 853C803C
	v_add_u32_e32 v232, s60, v232                              // 000000004D1C: 69D1D03C
	v_add_u32_e32 v233, s60, v233                              // 000000004D20: 69D3D23C
	s_waitcnt lgkmcnt(0)                                       // 000000004D24: BF8CC07F
	s_barrier                                                  // 000000004D28: BF8A0000
	ds_read_b128 a[40:43], v25 offset:8704                     // 000000004D2C: DBFE2200 28000019
	ds_read_b128 a[44:47], v25 offset:8960                     // 000000004D34: DBFE2300 2C000019
	ds_read_b128 a[48:51], v25 offset:13056                    // 000000004D3C: DBFE3300 30000019
	ds_read_b128 a[52:55], v25 offset:13312                    // 000000004D44: DBFE3400 34000019
	ds_read_b128 a[8:11], v24                                  // 000000004D4C: DBFE0000 08000018
	ds_read_b128 a[12:15], v24 offset:512                      // 000000004D54: DBFE0200 0C000018
	s_waitcnt vmcnt(16) lgkmcnt(0)                             // 000000004D5C: BF8C4070
	s_barrier                                                  // 000000004D60: BF8A0000
	s_cmp_lt_i32 2, s72                                        // 000000004D64: BF044882
	s_cbranch_scc1 label_03E3                                  // 000000004D68: BF850008
	v_mov_b32_e32 v196, 0                                      // 000000004D6C: 7F880280
	v_mov_b32_e32 v197, 0                                      // 000000004D70: 7F8A0280
	v_mov_b32_e32 v198, 0                                      // 000000004D74: 7F8C0280
	v_mov_b32_e32 v199, 0                                      // 000000004D78: 7F8E0280
	v_mov_b32_e32 v200, 0                                      // 000000004D7C: 7F900280
	v_mov_b32_e32 v201, 0                                      // 000000004D80: 7F920280
	v_mov_b32_e32 v202, 0                                      // 000000004D84: 7F940280
	v_mov_b32_e32 v203, 0                                      // 000000004D88: 7F960280

0000000000004d8c <label_03E3>:
	v_perm_b32 v204, v197, v196, s63                           // 000000004D8C: D1ED00CC 00FF89C5
	v_perm_b32 v205, v197, v196, s64                           // 000000004D94: D1ED00CD 010389C5
	v_perm_b32 v206, v199, v198, s63                           // 000000004D9C: D1ED00CE 00FF8DC7
	v_perm_b32 v207, v199, v198, s64                           // 000000004DA4: D1ED00CF 01038DC7
	v_perm_b32 v208, v201, v200, s63                           // 000000004DAC: D1ED00D0 00FF91C9
	v_perm_b32 v209, v201, v200, s64                           // 000000004DB4: D1ED00D1 010391C9
	v_perm_b32 v210, v203, v202, s63                           // 000000004DBC: D1ED00D2 00FF95CB
	v_perm_b32 v211, v203, v202, s64                           // 000000004DC4: D1ED00D3 010395CB
	ds_write_b32 v15, v204 offset:8704                         // 000000004DCC: D81A2200 0000CC0F
	ds_write_b32 v15, v205 offset:9760                         // 000000004DD4: D81A2620 0000CD0F
	ds_write_b32 v15, v206 offset:10880                        // 000000004DDC: D81A2A80 0000CE0F
	ds_write_b32 v15, v207 offset:11936                        // 000000004DE4: D81A2EA0 0000CF0F
	ds_write_b32 v15, v208 offset:13056                        // 000000004DEC: D81A3300 0000D00F
	ds_write_b32 v15, v209 offset:14112                        // 000000004DF4: D81A3720 0000D10F
	ds_write_b32 v15, v210 offset:15232                        // 000000004DFC: D81A3B80 0000D20F
	ds_write_b32 v15, v211 offset:16288                        // 000000004E04: D81A3FA0 0000D30F
	ds_write_b32 v13, v196                                     // 000000004E0C: D81A0000 0000C40D
	ds_write_b32 v13, v197 offset:1056                         // 000000004E14: D81A0420 0000C50D
	ds_write_b32 v13, v198 offset:2176                         // 000000004E1C: D81A0880 0000C60D
	ds_write_b32 v13, v199 offset:3232                         // 000000004E24: D81A0CA0 0000C70D
	ds_write_b32 v13, v200 offset:4352                         // 000000004E2C: D81A1100 0000C80D
	ds_write_b32 v13, v201 offset:5408                         // 000000004E34: D81A1520 0000C90D
	ds_write_b32 v13, v202 offset:6528                         // 000000004E3C: D81A1980 0000CA0D
	ds_write_b32 v13, v203 offset:7584                         // 000000004E44: D81A1DA0 0000CB0D
	buffer_load_dword v196, v232, s[16:19], 0 idxen            // 000000004E4C: E0502000 8004C4E8
	buffer_load_dword v197, v233, s[16:19], 0 idxen            // 000000004E54: E0502000 8004C5E9
	s_mul_i32 s60, 4, s7                                       // 000000004E5C: 923C0784
	s_cmp_lt_i32 2, s72                                        // 000000004E60: BF044882
	s_cselect_b32 s60, s60, 0                                  // 000000004E64: 853C803C
	v_add_u32_e32 v232, s60, v232                              // 000000004E68: 69D1D03C
	v_add_u32_e32 v233, s60, v233                              // 000000004E6C: 69D3D23C
	buffer_load_dword v198, v232, s[16:19], 0 idxen            // 000000004E70: E0502000 8004C6E8
	buffer_load_dword v199, v233, s[16:19], 0 idxen            // 000000004E78: E0502000 8004C7E9
	s_mul_i32 s60, 4, s7                                       // 000000004E80: 923C0784
	s_cmp_lt_i32 2, s72                                        // 000000004E84: BF044882
	s_cselect_b32 s60, s60, 0                                  // 000000004E88: 853C803C
	v_add_u32_e32 v232, s60, v232                              // 000000004E8C: 69D1D03C
	v_add_u32_e32 v233, s60, v233                              // 000000004E90: 69D3D23C
	buffer_load_dword v200, v232, s[16:19], 0 idxen            // 000000004E94: E0502000 8004C8E8
	buffer_load_dword v201, v233, s[16:19], 0 idxen            // 000000004E9C: E0502000 8004C9E9
	s_mul_i32 s60, 4, s7                                       // 000000004EA4: 923C0784
	s_cmp_lt_i32 2, s72                                        // 000000004EA8: BF044882
	s_cselect_b32 s60, s60, 0                                  // 000000004EAC: 853C803C
	v_add_u32_e32 v232, s60, v232                              // 000000004EB0: 69D1D03C
	v_add_u32_e32 v233, s60, v233                              // 000000004EB4: 69D3D23C
	buffer_load_dword v202, v232, s[16:19], 0 idxen            // 000000004EB8: E0502000 8004CAE8
	buffer_load_dword v203, v233, s[16:19], 0 idxen            // 000000004EC0: E0502000 8004CBE9
	s_mul_i32 s60, 4, s7                                       // 000000004EC8: 923C0784
	s_cmp_lt_i32 3, s72                                        // 000000004ECC: BF044883
	s_cselect_b32 s60, s60, 0                                  // 000000004ED0: 853C803C
	v_add_u32_e32 v232, s60, v232                              // 000000004ED4: 69D1D03C
	v_add_u32_e32 v233, s60, v233                              // 000000004ED8: 69D3D23C
	s_waitcnt lgkmcnt(0)                                       // 000000004EDC: BF8CC07F
	s_barrier                                                  // 000000004EE0: BF8A0000
	ds_read_b128 a[56:59], v25 offset:8704                     // 000000004EE4: DBFE2200 38000019
	ds_read_b128 a[60:63], v25 offset:8960                     // 000000004EEC: DBFE2300 3C000019
	ds_read_b128 a[64:67], v25 offset:13056                    // 000000004EF4: DBFE3300 40000019
	ds_read_b128 a[68:71], v25 offset:13312                    // 000000004EFC: DBFE3400 44000019
	ds_read_b128 a[16:19], v24                                 // 000000004F04: DBFE0000 10000018
	ds_read_b128 a[20:23], v24 offset:512                      // 000000004F0C: DBFE0200 14000018
	s_waitcnt vmcnt(16) lgkmcnt(0)                             // 000000004F14: BF8C4070
	s_barrier                                                  // 000000004F18: BF8A0000
	s_cmp_lt_i32 0, s72                                        // 000000004F1C: BF044880
	s_cbranch_scc1 label_0451                                  // 000000004F20: BF850008
	v_mov_b32_e32 v180, 0                                      // 000000004F24: 7F680280
	v_mov_b32_e32 v181, 0                                      // 000000004F28: 7F6A0280
	v_mov_b32_e32 v182, 0                                      // 000000004F2C: 7F6C0280
	v_mov_b32_e32 v183, 0                                      // 000000004F30: 7F6E0280
	v_mov_b32_e32 v184, 0                                      // 000000004F34: 7F700280
	v_mov_b32_e32 v185, 0                                      // 000000004F38: 7F720280
	v_mov_b32_e32 v186, 0                                      // 000000004F3C: 7F740280
	v_mov_b32_e32 v187, 0                                      // 000000004F40: 7F760280

0000000000004f44 <label_0451>:
	ds_write_b32 v13, v180                                     // 000000004F44: D81A0000 0000B40D
	ds_write_b32 v13, v181 offset:1056                         // 000000004F4C: D81A0420 0000B50D
	ds_write_b32 v13, v182 offset:2176                         // 000000004F54: D81A0880 0000B60D
	ds_write_b32 v13, v183 offset:3232                         // 000000004F5C: D81A0CA0 0000B70D
	ds_write_b32 v13, v184 offset:4352                         // 000000004F64: D81A1100 0000B80D
	ds_write_b32 v13, v185 offset:5408                         // 000000004F6C: D81A1520 0000B90D
	ds_write_b32 v13, v186 offset:6528                         // 000000004F74: D81A1980 0000BA0D
	ds_write_b32 v13, v187 offset:7584                         // 000000004F7C: D81A1DA0 0000BB0D
	s_mov_b32 s71, s5                                          // 000000004F84: BEC70005
	v_lshrrev_b32_e32 v32, 4, v0                               // 000000004F88: 20400084
	v_and_b32_e32 v33, 1, v32                                  // 000000004F8C: 26424081
	v_lshlrev_b32_e32 v33, 1, v33                              // 000000004F90: 24424281
	v_mul_i32_i24_e32 v33, s71, v33                            // 000000004F94: 0C424247
	v_and_b32_e32 v34, 2, v32                                  // 000000004F98: 26444082
	v_lshlrev_b32_e32 v34, 5, v34                              // 000000004F9C: 24444485
	v_add_u32_e32 v33, v34, v33                                // 000000004FA0: 68424322
	v_and_b32_e32 v32, 15, v0                                  // 000000004FA4: 2640008F
	v_lshlrev_b32_e32 v32, 2, v32                              // 000000004FA8: 24404082
	v_add_u32_e32 v1, v32, v33                                 // 000000004FAC: 68024320
	s_mul_i32 s60, s46, s71                                    // 000000004FB0: 923C472E
	s_mul_i32 s60, s60, 4                                      // 000000004FB4: 923C843C
	v_add_u32_e32 v1, s60, v1                                  // 000000004FB8: 6802023C
	v_add_u32_e32 v2, s71, v1                                  // 000000004FBC: 68040247
	s_mul_i32 s60, 16, s71                                     // 000000004FC0: 923C4790
	v_add_u32_e32 v3, s60, v1                                  // 000000004FC4: 6806023C
	v_add_u32_e32 v4, s60, v2                                  // 000000004FC8: 6808043C
	s_mov_b32 s71, s51                                         // 000000004FCC: BEC70033
	v_lshrrev_b32_e32 v32, 4, v0                               // 000000004FD0: 20400084
	v_and_b32_e32 v33, 1, v32                                  // 000000004FD4: 26424081
	v_lshlrev_b32_e32 v33, 1, v33                              // 000000004FD8: 24424281
	v_mul_i32_i24_e32 v33, s71, v33                            // 000000004FDC: 0C424247
	v_and_b32_e32 v34, 2, v32                                  // 000000004FE0: 26444082
	v_lshlrev_b32_e32 v34, 5, v34                              // 000000004FE4: 24444485
	v_add_u32_e32 v33, v34, v33                                // 000000004FE8: 68424322
	v_and_b32_e32 v32, 15, v0                                  // 000000004FEC: 2640008F
	v_lshlrev_b32_e32 v32, 2, v32                              // 000000004FF0: 24404082
	v_add_u32_e32 v232, v32, v33                               // 000000004FF4: 69D04320
	s_mul_i32 s60, s46, s71                                    // 000000004FF8: 923C472E
	s_mul_i32 s60, s60, 4                                      // 000000004FFC: 923C843C
	v_add_u32_e32 v232, s60, v232                              // 000000005000: 69D1D03C
	v_add_u32_e32 v233, s71, v232                              // 000000005004: 69D3D047
	s_mul_i32 s60, 16, s71                                     // 000000005008: 923C4790
	v_add_u32_e32 v234, s60, v232                              // 00000000500C: 69D5D03C
	v_add_u32_e32 v235, s60, v233                              // 000000005010: 69D7D23C
	v_lshrrev_b32_e32 v1, 2, v1                                // 000000005014: 20020282
	v_lshrrev_b32_e32 v2, 2, v2                                // 000000005018: 20040482
	v_lshrrev_b32_e32 v3, 2, v3                                // 00000000501C: 20060682
	v_lshrrev_b32_e32 v4, 2, v4                                // 000000005020: 20080882
	v_lshrrev_b32_e32 v232, 2, v232                            // 000000005024: 21D1D082
	v_lshrrev_b32_e32 v233, 2, v233                            // 000000005028: 21D3D282
	v_lshrrev_b32_e32 v234, 2, v234                            // 00000000502C: 21D5D482
	v_lshrrev_b32_e32 v235, 2, v235                            // 000000005030: 21D7D682
	buffer_load_dword v36, v1, s[8:11], 0 idxen                // 000000005034: E0502000 80022401
	buffer_load_dword v37, v2, s[8:11], 0 idxen                // 00000000503C: E0502000 80022502
	buffer_load_dword v38, v3, s[8:11], 0 idxen                // 000000005044: E0502000 80022603
	buffer_load_dword v39, v4, s[8:11], 0 idxen                // 00000000504C: E0502000 80022704
	buffer_load_dword v44, v232, s[20:23], 0 idxen             // 000000005054: E0502000 80052CE8
	buffer_load_dword v45, v233, s[20:23], 0 idxen             // 00000000505C: E0502000 80052DE9
	buffer_load_dword v46, v234, s[20:23], 0 idxen             // 000000005064: E0502000 80052EEA
	buffer_load_dword v47, v235, s[20:23], 0 idxen             // 00000000506C: E0502000 80052FEB
	s_waitcnt lgkmcnt(0)                                       // 000000005074: BF8CC07F
	s_barrier                                                  // 000000005078: BF8A0000
	ds_read_b128 a[72:75], v24                                 // 00000000507C: DBFE0000 48000018
	ds_read_b128 a[76:79], v24 offset:512                      // 000000005084: DBFE0200 4C000018
	v_add_u32_e32 v1, s68, v1                                  // 00000000508C: 68020244
	v_add_u32_e32 v2, s68, v2                                  // 000000005090: 68040444
	v_add_u32_e32 v3, s68, v3                                  // 000000005094: 68060644
	;; [unrolled: 1-line block ×3, first 2 shown]
	v_add_u32_e32 v232, s99, v232                              // 00000000509C: 69D1D063
	v_add_u32_e32 v233, s99, v233                              // 0000000050A0: 69D3D263
	v_add_u32_e32 v234, s99, v234                              // 0000000050A4: 69D5D463
	v_add_u32_e32 v235, s99, v235                              // 0000000050A8: 69D7D663
	s_waitcnt vmcnt(16) lgkmcnt(0)                             // 0000000050AC: BF8C4070
	s_barrier                                                  // 0000000050B0: BF8A0000
	s_cmp_lt_i32 1, s72                                        // 0000000050B4: BF044881
	s_cbranch_scc1 label_04B7                                  // 0000000050B8: BF850008
	v_mov_b32_e32 v188, 0                                      // 0000000050BC: 7F780280
	v_mov_b32_e32 v189, 0                                      // 0000000050C0: 7F7A0280
	v_mov_b32_e32 v190, 0                                      // 0000000050C4: 7F7C0280
	v_mov_b32_e32 v191, 0                                      // 0000000050C8: 7F7E0280
	v_mov_b32_e32 v192, 0                                      // 0000000050CC: 7F800280
	v_mov_b32_e32 v193, 0                                      // 0000000050D0: 7F820280
	v_mov_b32_e32 v194, 0                                      // 0000000050D4: 7F840280
	v_mov_b32_e32 v195, 0                                      // 0000000050D8: 7F860280

00000000000050dc <label_04B7>:
	ds_write_b32 v13, v188                                     // 0000000050DC: D81A0000 0000BC0D
	ds_write_b32 v13, v189 offset:1056                         // 0000000050E4: D81A0420 0000BD0D
	ds_write_b32 v13, v190 offset:2176                         // 0000000050EC: D81A0880 0000BE0D
	ds_write_b32 v13, v191 offset:3232                         // 0000000050F4: D81A0CA0 0000BF0D
	ds_write_b32 v13, v192 offset:4352                         // 0000000050FC: D81A1100 0000C00D
	ds_write_b32 v13, v193 offset:5408                         // 000000005104: D81A1520 0000C10D
	ds_write_b32 v13, v194 offset:6528                         // 00000000510C: D81A1980 0000C20D
	ds_write_b32 v13, v195 offset:7584                         // 000000005114: D81A1DA0 0000C30D
	buffer_load_dword v40, v1, s[8:11], 0 idxen                // 00000000511C: E0502000 80022801
	buffer_load_dword v41, v2, s[8:11], 0 idxen                // 000000005124: E0502000 80022902
	buffer_load_dword v42, v3, s[8:11], 0 idxen                // 00000000512C: E0502000 80022A03
	buffer_load_dword v43, v4, s[8:11], 0 idxen                // 000000005134: E0502000 80022B04
	buffer_load_dword v48, v232, s[20:23], 0 idxen             // 00000000513C: E0502000 800530E8
	buffer_load_dword v49, v233, s[20:23], 0 idxen             // 000000005144: E0502000 800531E9
	buffer_load_dword v50, v234, s[20:23], 0 idxen             // 00000000514C: E0502000 800532EA
	buffer_load_dword v51, v235, s[20:23], 0 idxen             // 000000005154: E0502000 800533EB
	s_waitcnt lgkmcnt(0)                                       // 00000000515C: BF8CC07F
	s_barrier                                                  // 000000005160: BF8A0000
	ds_read_b128 a[80:83], v24                                 // 000000005164: DBFE0000 50000018
	ds_read_b128 a[84:87], v24 offset:512                      // 00000000516C: DBFE0200 54000018
	s_add_u32 s60, 64, s59                                     // 000000005174: 803C3BC0
	s_cmp_lt_u32 s60, s58                                      // 000000005178: BF0A3A3C
	s_cselect_b32 s68, s68, 0                                  // 00000000517C: 85448044
	s_cselect_b32 s99, s99, 0                                  // 000000005180: 85638063
	v_add_u32_e32 v1, s68, v1                                  // 000000005184: 68020244
	v_add_u32_e32 v2, s68, v2                                  // 000000005188: 68040444
	v_add_u32_e32 v3, s68, v3                                  // 00000000518C: 68060644
	v_add_u32_e32 v4, s68, v4                                  // 000000005190: 68080844
	v_add_u32_e32 v232, s99, v232                              // 000000005194: 69D1D063
	v_add_u32_e32 v233, s99, v233                              // 000000005198: 69D3D263
	v_add_u32_e32 v234, s99, v234                              // 00000000519C: 69D5D463
	v_add_u32_e32 v235, s99, v235                              // 0000000051A0: 69D7D663
	s_waitcnt vmcnt(16) lgkmcnt(0)                             // 0000000051A4: BF8C4070
	s_barrier                                                  // 0000000051A8: BF8A0000
	s_cmp_lt_i32 2, s72                                        // 0000000051AC: BF044882
	s_cbranch_scc1 label_04F5                                  // 0000000051B0: BF850008
	v_mov_b32_e32 v196, 0                                      // 0000000051B4: 7F880280
	v_mov_b32_e32 v197, 0                                      // 0000000051B8: 7F8A0280
	v_mov_b32_e32 v198, 0                                      // 0000000051BC: 7F8C0280
	v_mov_b32_e32 v199, 0                                      // 0000000051C0: 7F8E0280
	v_mov_b32_e32 v200, 0                                      // 0000000051C4: 7F900280
	v_mov_b32_e32 v201, 0                                      // 0000000051C8: 7F920280
	v_mov_b32_e32 v202, 0                                      // 0000000051CC: 7F940280
	v_mov_b32_e32 v203, 0                                      // 0000000051D0: 7F960280

00000000000051d4 <label_04F5>:
	ds_write_b32 v13, v196                                     // 0000000051D4: D81A0000 0000C40D
	ds_write_b32 v13, v197 offset:1056                         // 0000000051DC: D81A0420 0000C50D
	ds_write_b32 v13, v198 offset:2176                         // 0000000051E4: D81A0880 0000C60D
	ds_write_b32 v13, v199 offset:3232                         // 0000000051EC: D81A0CA0 0000C70D
	ds_write_b32 v13, v200 offset:4352                         // 0000000051F4: D81A1100 0000C80D
	ds_write_b32 v13, v201 offset:5408                         // 0000000051FC: D81A1520 0000C90D
	ds_write_b32 v13, v202 offset:6528                         // 000000005204: D81A1980 0000CA0D
	ds_write_b32 v13, v203 offset:7584                         // 00000000520C: D81A1DA0 0000CB0D
	s_waitcnt lgkmcnt(0)                                       // 000000005214: BF8CC07F
	s_barrier                                                  // 000000005218: BF8A0000
	ds_read_b128 a[88:91], v24                                 // 00000000521C: DBFE0000 58000018
	ds_read_b128 a[92:95], v24 offset:512                      // 000000005224: DBFE0200 5C000018
	s_waitcnt vmcnt(8) lgkmcnt(0)                              // 00000000522C: BF8C0078
	s_barrier                                                  // 000000005230: BF8A0000
	buffer_load_dword v11, s[24:27], 0 idxen lds               // 000000005234: E0512000 8006000B
	s_mov_b32 m0, s81                                          // 00000000523C: BEFC0051
	v_add_u32_e32 v11, s69, v11                                // 000000005240: 68161645
	v_perm_b32 v100, v37, v36, s63                             // 000000005244: D1ED0064 00FE4925
	v_perm_b32 v101, v37, v36, s64                             // 00000000524C: D1ED0065 01024925
	v_perm_b32 v102, v39, v38, s63                             // 000000005254: D1ED0066 00FE4D27
	v_perm_b32 v103, v39, v38, s64                             // 00000000525C: D1ED0067 01024D27
	ds_write_b32 v15, v100 offset:4352                         // 000000005264: D81A1100 0000640F
	ds_write_b32 v15, v101 offset:5408                         // 00000000526C: D81A1520 0000650F
	ds_write_b32 v15, v102 offset:6528                         // 000000005274: D81A1980 0000660F
	ds_write_b32 v15, v103 offset:7584                         // 00000000527C: D81A1DA0 0000670F
	ds_write_b32 v13, v36                                      // 000000005284: D81A0000 0000240D
	ds_write_b32 v13, v37 offset:1056                          // 00000000528C: D81A0420 0000250D
	ds_write_b32 v13, v38 offset:2176                          // 000000005294: D81A0880 0000260D
	ds_write_b32 v13, v39 offset:3232                          // 00000000529C: D81A0CA0 0000270D
	buffer_load_dword v11, s[24:27], 0 idxen lds               // 0000000052A4: E0512000 8006000B
	s_add_u32 s60, 64, s59                                     // 0000000052AC: 803C3BC0
	s_cmp_lt_u32 s60, s58                                      // 0000000052B0: BF0A3A3C
	s_cselect_b32 s69, s69, 0                                  // 0000000052B4: 85458045
	s_mov_b32 m0, s80                                          // 0000000052B8: BEFC0050
	v_add_u32_e32 v11, s69, v11                                // 0000000052BC: 68161645
	v_perm_b32 v104, v45, v44, s63                             // 0000000052C0: D1ED0068 00FE592D
	v_perm_b32 v105, v45, v44, s64                             // 0000000052C8: D1ED0069 0102592D
	v_perm_b32 v106, v47, v46, s63                             // 0000000052D0: D1ED006A 00FE5D2F
	v_perm_b32 v107, v47, v46, s64                             // 0000000052D8: D1ED006B 01025D2F
	ds_write_b32 v15, v104 offset:13056                        // 0000000052E0: D81A3300 0000680F
	ds_write_b32 v15, v105 offset:14112                        // 0000000052E8: D81A3720 0000690F
	ds_write_b32 v15, v106 offset:15232                        // 0000000052F0: D81A3B80 00006A0F
	ds_write_b32 v15, v107 offset:16288                        // 0000000052F8: D81A3FA0 00006B0F
	ds_write_b32 v13, v44 offset:8704                          // 000000005300: D81A2200 00002C0D
	ds_write_b32 v13, v45 offset:9760                          // 000000005308: D81A2620 00002D0D
	ds_write_b32 v13, v46 offset:10880                         // 000000005310: D81A2A80 00002E0D
	ds_write_b32 v13, v47 offset:11936                         // 000000005318: D81A2EA0 00002F0D
	s_waitcnt vmcnt(1) lgkmcnt(0)                              // 000000005320: BF8C0071
	s_barrier                                                  // 000000005324: BF8A0000
	ds_read_b128 a[96:99], v12                                 // 000000005328: DBFE0000 6000000C
	ds_read_b128 a[100:103], v12 offset:512                    // 000000005330: DBFE0200 6400000C
	ds_read_b128 a[104:107], v12 offset:2176                   // 000000005338: DBFE0880 6800000C
	ds_read_b128 a[108:111], v12 offset:2688                   // 000000005340: DBFE0A80 6C00000C
	ds_read_b128 v[108:111], v12 offset:8704                   // 000000005348: D9FE2200 6C00000C
	ds_read_b128 v[112:115], v12 offset:9216                   // 000000005350: D9FE2400 7000000C
	ds_read_b128 v[116:119], v12 offset:10880                  // 000000005358: D9FE2A80 7400000C
	ds_read_b128 v[120:123], v12 offset:11392                  // 000000005360: D9FE2C80 7800000C
	ds_read_b32 v140, v23 offset:39424                         // 000000005368: D86C9A00 8C000017
	ds_read_b32 v144, v23 offset:39488                         // 000000005370: D86C9A40 90000017
	ds_read_b32 v176, v23 offset:39680                         // 000000005378: D86C9B00 B0000017
	ds_read_b32 v177, v23 offset:39744                         // 000000005380: D86C9B40 B1000017
	v_accvgpr_write_b32 a112, 0                                // 000000005388: D3D94070 18000080
	v_mov_b32_e32 v180, 0                                      // 000000005390: 7F680280
	v_accvgpr_write_b32 a113, 0                                // 000000005394: D3D94071 18000080
	v_mov_b32_e32 v181, 0                                      // 00000000539C: 7F6A0280
	v_accvgpr_write_b32 a114, 0                                // 0000000053A0: D3D94072 18000080
	v_mov_b32_e32 v182, 0                                      // 0000000053A8: 7F6C0280
	v_accvgpr_write_b32 a115, 0                                // 0000000053AC: D3D94073 18000080
	v_mov_b32_e32 v183, 0                                      // 0000000053B4: 7F6E0280
	v_accvgpr_write_b32 a116, 0                                // 0000000053B8: D3D94074 18000080
	v_mov_b32_e32 v184, 0                                      // 0000000053C0: 7F700280
	v_accvgpr_write_b32 a117, 0                                // 0000000053C4: D3D94075 18000080
	v_mov_b32_e32 v185, 0                                      // 0000000053CC: 7F720280
	v_accvgpr_write_b32 a118, 0                                // 0000000053D0: D3D94076 18000080
	v_mov_b32_e32 v186, 0                                      // 0000000053D8: 7F740280
	v_accvgpr_write_b32 a119, 0                                // 0000000053DC: D3D94077 18000080
	v_mov_b32_e32 v187, 0                                      // 0000000053E4: 7F760280
	v_accvgpr_write_b32 a120, 0                                // 0000000053E8: D3D94078 18000080
	v_mov_b32_e32 v188, 0                                      // 0000000053F0: 7F780280
	v_accvgpr_write_b32 a121, 0                                // 0000000053F4: D3D94079 18000080
	v_mov_b32_e32 v189, 0                                      // 0000000053FC: 7F7A0280
	v_accvgpr_write_b32 a122, 0                                // 000000005400: D3D9407A 18000080
	v_mov_b32_e32 v190, 0                                      // 000000005408: 7F7C0280
	v_accvgpr_write_b32 a123, 0                                // 00000000540C: D3D9407B 18000080
	v_mov_b32_e32 v191, 0                                      // 000000005414: 7F7E0280
	v_accvgpr_write_b32 a124, 0                                // 000000005418: D3D9407C 18000080
	v_mov_b32_e32 v192, 0                                      // 000000005420: 7F800280
	v_accvgpr_write_b32 a125, 0                                // 000000005424: D3D9407D 18000080
	v_mov_b32_e32 v193, 0                                      // 00000000542C: 7F820280
	v_accvgpr_write_b32 a126, 0                                // 000000005430: D3D9407E 18000080
	v_mov_b32_e32 v194, 0                                      // 000000005438: 7F840280
	v_accvgpr_write_b32 a127, 0                                // 00000000543C: D3D9407F 18000080
	v_mov_b32_e32 v195, 0                                      // 000000005444: 7F860280
	v_accvgpr_write_b32 a128, 0                                // 000000005448: D3D94080 18000080
	v_mov_b32_e32 v196, 0                                      // 000000005450: 7F880280
	v_accvgpr_write_b32 a129, 0                                // 000000005454: D3D94081 18000080
	v_mov_b32_e32 v197, 0                                      // 00000000545C: 7F8A0280
	v_accvgpr_write_b32 a130, 0                                // 000000005460: D3D94082 18000080
	v_mov_b32_e32 v198, 0                                      // 000000005468: 7F8C0280
	v_accvgpr_write_b32 a131, 0                                // 00000000546C: D3D94083 18000080
	v_mov_b32_e32 v199, 0                                      // 000000005474: 7F8E0280
	v_accvgpr_write_b32 a132, 0                                // 000000005478: D3D94084 18000080
	v_mov_b32_e32 v200, 0                                      // 000000005480: 7F900280
	v_accvgpr_write_b32 a133, 0                                // 000000005484: D3D94085 18000080
	v_mov_b32_e32 v201, 0                                      // 00000000548C: 7F920280
	v_accvgpr_write_b32 a134, 0                                // 000000005490: D3D94086 18000080
	v_mov_b32_e32 v202, 0                                      // 000000005498: 7F940280
	v_accvgpr_write_b32 a135, 0                                // 00000000549C: D3D94087 18000080
	v_mov_b32_e32 v203, 0                                      // 0000000054A4: 7F960280
	v_accvgpr_write_b32 a136, 0                                // 0000000054A8: D3D94088 18000080
	v_mov_b32_e32 v204, 0                                      // 0000000054B0: 7F980280
	v_accvgpr_write_b32 a137, 0                                // 0000000054B4: D3D94089 18000080
	v_mov_b32_e32 v205, 0                                      // 0000000054BC: 7F9A0280
	v_accvgpr_write_b32 a138, 0                                // 0000000054C0: D3D9408A 18000080
	v_mov_b32_e32 v206, 0                                      // 0000000054C8: 7F9C0280
	v_accvgpr_write_b32 a139, 0                                // 0000000054CC: D3D9408B 18000080
	v_mov_b32_e32 v207, 0                                      // 0000000054D4: 7F9E0280
	v_accvgpr_write_b32 a140, 0                                // 0000000054D8: D3D9408C 18000080
	v_mov_b32_e32 v208, 0                                      // 0000000054E0: 7FA00280
	v_accvgpr_write_b32 a141, 0                                // 0000000054E4: D3D9408D 18000080
	v_mov_b32_e32 v209, 0                                      // 0000000054EC: 7FA20280
	v_accvgpr_write_b32 a142, 0                                // 0000000054F0: D3D9408E 18000080
	v_mov_b32_e32 v210, 0                                      // 0000000054F8: 7FA40280
	v_accvgpr_write_b32 a143, 0                                // 0000000054FC: D3D9408F 18000080
	v_mov_b32_e32 v211, 0                                      // 000000005504: 7FA60280
	v_accvgpr_write_b32 a144, 0                                // 000000005508: D3D94090 18000080
	v_mov_b32_e32 v212, 0                                      // 000000005510: 7FA80280
	v_accvgpr_write_b32 a145, 0                                // 000000005514: D3D94091 18000080
	v_mov_b32_e32 v213, 0                                      // 00000000551C: 7FAA0280
	v_accvgpr_write_b32 a146, 0                                // 000000005520: D3D94092 18000080
	v_mov_b32_e32 v214, 0                                      // 000000005528: 7FAC0280
	v_accvgpr_write_b32 a147, 0                                // 00000000552C: D3D94093 18000080
	v_mov_b32_e32 v215, 0                                      // 000000005534: 7FAE0280
	v_accvgpr_write_b32 a148, 0                                // 000000005538: D3D94094 18000080
	v_mov_b32_e32 v216, 0                                      // 000000005540: 7FB00280
	v_accvgpr_write_b32 a149, 0                                // 000000005544: D3D94095 18000080
	v_mov_b32_e32 v217, 0                                      // 00000000554C: 7FB20280
	v_accvgpr_write_b32 a150, 0                                // 000000005550: D3D94096 18000080
	v_mov_b32_e32 v218, 0                                      // 000000005558: 7FB40280
	v_accvgpr_write_b32 a151, 0                                // 00000000555C: D3D94097 18000080
	v_mov_b32_e32 v219, 0                                      // 000000005564: 7FB60280
	v_accvgpr_write_b32 a152, 0                                // 000000005568: D3D94098 18000080
	v_mov_b32_e32 v220, 0                                      // 000000005570: 7FB80280
	v_accvgpr_write_b32 a153, 0                                // 000000005574: D3D94099 18000080
	v_mov_b32_e32 v221, 0                                      // 00000000557C: 7FBA0280
	v_accvgpr_write_b32 a154, 0                                // 000000005580: D3D9409A 18000080
	v_mov_b32_e32 v222, 0                                      // 000000005588: 7FBC0280
	v_accvgpr_write_b32 a155, 0                                // 00000000558C: D3D9409B 18000080
	v_mov_b32_e32 v223, 0                                      // 000000005594: 7FBE0280
	v_accvgpr_write_b32 a156, 0                                // 000000005598: D3D9409C 18000080
	v_mov_b32_e32 v224, 0                                      // 0000000055A0: 7FC00280
	v_accvgpr_write_b32 a157, 0                                // 0000000055A4: D3D9409D 18000080
	v_mov_b32_e32 v225, 0                                      // 0000000055AC: 7FC20280
	v_accvgpr_write_b32 a158, 0                                // 0000000055B0: D3D9409E 18000080
	v_mov_b32_e32 v226, 0                                      // 0000000055B8: 7FC40280
	v_accvgpr_write_b32 a159, 0                                // 0000000055BC: D3D9409F 18000080
	v_mov_b32_e32 v227, 0                                      // 0000000055C4: 7FC60280
	v_mov_b32_e32 v156, 0                                      // 0000000055C8: 7F380280
	v_mov_b32_e32 v157, 0                                      // 0000000055CC: 7F3A0280
	v_mov_b32_e32 v158, 0                                      // 0000000055D0: 7F3C0280
	v_mov_b32_e32 v159, 0                                      // 0000000055D4: 7F3E0280
	v_mov_b32_e32 v160, 0                                      // 0000000055D8: 7F400280
	v_mov_b32_e32 v161, 0                                      // 0000000055DC: 7F420280
	v_mov_b32_e32 v162, 0                                      // 0000000055E0: 7F440280
	v_mov_b32_e32 v163, 0                                      // 0000000055E4: 7F460280
	v_mov_b32_e32 v148, 0                                      // 0000000055E8: 7F280280
	v_mov_b32_e32 v149, 0                                      // 0000000055EC: 7F2A0280
	v_mov_b32_e32 v150, 0                                      // 0000000055F0: 7F2C0280
	v_mov_b32_e32 v151, 0                                      // 0000000055F4: 7F2E0280
	v_mov_b32_e32 v152, 0                                      // 0000000055F8: 7F300280
	v_mov_b32_e32 v153, 0                                      // 0000000055FC: 7F320280
	v_mov_b32_e32 v154, 0                                      // 000000005600: 7F340280
	v_mov_b32_e32 v155, 0                                      // 000000005604: 7F360280
	s_waitcnt lgkmcnt(0)                                       // 000000005608: BF8CC07F
	s_barrier                                                  // 00000000560C: BF8A0000
	buffer_load_dword v36, v1, s[8:11], 0 idxen                // 000000005610: E0502000 80022401
	buffer_load_dword v37, v2, s[8:11], 0 idxen                // 000000005618: E0502000 80022502
	;; [unrolled: 1-line block ×4, first 2 shown]
	buffer_load_dword v44, v232, s[20:23], 0 idxen             // 000000005630: E0502000 80052CE8
	buffer_load_dword v45, v233, s[20:23], 0 idxen             // 000000005638: E0502000 80052DE9
	buffer_load_dword v46, v234, s[20:23], 0 idxen             // 000000005640: E0502000 80052EEA
	buffer_load_dword v47, v235, s[20:23], 0 idxen             // 000000005648: E0502000 80052FEB
	buffer_load_dword v11, s[24:27], 0 idxen lds               // 000000005650: E0512000 8006000B
	s_add_u32 s60, 0x60, s59                                   // 000000005658: 803C3BFF 00000060
	s_cmp_lt_u32 s60, s58                                      // 000000005660: BF0A3A3C
	s_cselect_b32 s68, s68, 0                                  // 000000005664: 85448044
	s_cselect_b32 s99, s99, 0                                  // 000000005668: 85638063
	s_cselect_b32 s69, s69, 0                                  // 00000000566C: 85458045
	s_mov_b32 m0, s81                                          // 000000005670: BEFC0051
	v_add_u32_e32 v11, s69, v11                                // 000000005674: 68161645
	v_add_u32_e32 v1, s68, v1                                  // 000000005678: 68020244
	v_add_u32_e32 v2, s68, v2                                  // 00000000567C: 68040444
	v_add_u32_e32 v3, s68, v3                                  // 000000005680: 68060644
	v_add_u32_e32 v4, s68, v4                                  // 000000005684: 68080844
	v_add_u32_e32 v232, s99, v232                              // 000000005688: 69D1D063
	v_add_u32_e32 v233, s99, v233                              // 00000000568C: 69D3D263
	v_add_u32_e32 v234, s99, v234                              // 000000005690: 69D5D463
	v_add_u32_e32 v235, s99, v235                              // 000000005694: 69D7D663
	v_mul_f32_e32 v140, s48, v140                              // 000000005698: 0B191830
	v_mul_f32_e32 v144, s48, v144                              // 00000000569C: 0B212030
	v_perm_b32 v100, v41, v40, s63                             // 0000000056A0: D1ED0064 00FE5129
	v_perm_b32 v101, v41, v40, s64                             // 0000000056A8: D1ED0065 01025129
	v_perm_b32 v102, v43, v42, s63                             // 0000000056B0: D1ED0066 00FE552B
	v_perm_b32 v103, v43, v42, s64                             // 0000000056B8: D1ED0067 0102552B
	v_perm_b32 v104, v49, v48, s63                             // 0000000056C0: D1ED0068 00FE6131
	v_perm_b32 v105, v49, v48, s64                             // 0000000056C8: D1ED0069 01026131
	v_perm_b32 v106, v51, v50, s63                             // 0000000056D0: D1ED006A 00FE6533
	v_perm_b32 v107, v51, v50, s64                             // 0000000056D8: D1ED006B 01026533
	v_mov_b32_dpp v143, v140 quad_perm:[3,3,3,3] row_mask:0xf bank_mask:0xf// 0000000056E0: 7F1E02FA FF00FF8C
	v_mov_b32_dpp v142, v140 quad_perm:[2,2,2,2] row_mask:0xf bank_mask:0xf// 0000000056E8: 7F1C02FA FF00AA8C
	v_mov_b32_dpp v141, v140 quad_perm:[1,1,1,1] row_mask:0xf bank_mask:0xf// 0000000056F0: 7F1A02FA FF00558C
	v_mov_b32_dpp v140, v140 quad_perm:[0,0,0,0] row_mask:0xf bank_mask:0xf// 0000000056F8: 7F1802FA FF00008C
	v_mov_b32_dpp v147, v144 quad_perm:[3,3,3,3] row_mask:0xf bank_mask:0xf// 000000005700: 7F2602FA FF00FF90
	v_mov_b32_dpp v146, v144 quad_perm:[2,2,2,2] row_mask:0xf bank_mask:0xf// 000000005708: 7F2402FA FF00AA90
	v_mov_b32_dpp v145, v144 quad_perm:[1,1,1,1] row_mask:0xf bank_mask:0xf// 000000005710: 7F2202FA FF005590
	v_mov_b32_dpp v144, v144 quad_perm:[0,0,0,0] row_mask:0xf bank_mask:0xf// 000000005718: 7F2002FA FF000090
	s_waitcnt vmcnt(9)                                         // 000000005720: BF8C0F79
	s_barrier                                                  // 000000005724: BF8A0000
	s_cmp_lt_i32 s46, 2                                        // 000000005728: BF04822E
	s_cbranch_scc0 label_11E8                                  // 00000000572C: BF840B8A
	s_nop 0                                                    // 000000005730: BF800000
	s_nop 0                                                    // 000000005734: BF800000

0000000000005738 <label_064E>:
	s_waitcnt lgkmcnt(0)                                       // 000000005738: BF8CC07F
	s_barrier                                                  // 00000000573C: BF8A0000
	v_mfma_f32_16x16x16_bf16 v[52:55], a[96:97], a[0:1], 0     // 000000005740: D3E10034 1A020160
	ds_write_b32 v13, v48 offset:8704                          // 000000005748: D81A2200 0000300D
	ds_write_b32 v13, v49 offset:9760                          // 000000005750: D81A2620 0000310D
	v_mfma_f32_16x16x16_bf16 v[52:55], a[98:99], a[2:3], v[52:55]// 000000005758: D3E10034 1CD20562
	v_mul_f32_e32 v148, s47, v148                              // 000000005760: 0B29282F
	v_mul_f32_e32 v149, s47, v149                              // 000000005764: 0B2B2A2F
	v_mfma_f32_16x16x16_bf16 v[52:55], a[100:101], a[4:5], v[52:55]// 000000005768: D3E10034 1CD20964
	ds_write_b32 v13, v50 offset:10880                         // 000000005770: D81A2A80 0000320D
	ds_write_b32 v13, v51 offset:11936                         // 000000005778: D81A2EA0 0000330D
	v_mfma_f32_16x16x16_bf16 v[52:55], a[102:103], a[6:7], v[52:55]// 000000005780: D3E10034 1CD20D66
	v_mul_f32_e32 v150, s47, v150                              // 000000005788: 0B2D2C2F
	v_mul_f32_e32 v151, s47, v151                              // 00000000578C: 0B2F2E2F
	v_mfma_f32_16x16x16_bf16 v[56:59], a[96:97], a[8:9], 0     // 000000005790: D3E10038 1A021160
	ds_write_b64 v22, v[148:149] offset:31232                  // 000000005798: D89A7A00 00009416
	v_mfma_f32_16x16x16_bf16 v[56:59], a[98:99], a[10:11], v[56:59]// 0000000057A0: D3E10038 1CE21562
	v_mul_f32_e32 v152, s47, v152                              // 0000000057A8: 0B31302F
	v_mul_f32_e32 v153, s47, v153                              // 0000000057AC: 0B33322F
	v_mfma_f32_16x16x16_bf16 v[56:59], a[100:101], a[12:13], v[56:59]// 0000000057B0: D3E10038 1CE21964
	ds_write_b64 v22, v[150:151] offset:31744                  // 0000000057B8: D89A7C00 00009616
	v_mfma_f32_16x16x16_bf16 v[56:59], a[102:103], a[14:15], v[56:59]// 0000000057C0: D3E10038 1CE21D66
	v_mul_f32_e32 v154, s47, v154                              // 0000000057C8: 0B35342F
	v_mul_f32_e32 v155, s47, v155                              // 0000000057CC: 0B37362F
	v_mfma_f32_16x16x16_bf16 v[60:63], a[96:97], a[16:17], 0   // 0000000057D0: D3E1003C 1A022160
	ds_write_b64 v22, v[152:153] offset:32256                  // 0000000057D8: D89A7E00 00009816
	v_mfma_f32_16x16x16_bf16 v[60:63], a[98:99], a[18:19], v[60:63]// 0000000057E0: D3E1003C 1CF22562
	buffer_atomic_add_f32 v160, v8, s[32:35], 0 idxen          // 0000000057E8: E1342000 8008A008
	v_mfma_f32_16x16x16_bf16 v[60:63], a[100:101], a[20:21], v[60:63]// 0000000057F0: D3E1003C 1CF22964
	ds_write_b64 v22, v[154:155] offset:32768                  // 0000000057F8: D89A8000 00009A16
	v_mfma_f32_16x16x16_bf16 v[60:63], a[102:103], a[22:23], v[60:63]// 000000005800: D3E1003C 1CF22D66
	v_mfma_f32_16x16x16_bf16 v[64:67], a[104:105], a[0:1], 0   // 000000005808: D3E10040 1A020168
	ds_read_b128 v[124:127], v14 offset:13056                  // 000000005810: D9FE3300 7C00000E
	ds_write_b32 v13, v40                                      // 000000005818: D81A0000 0000280D
	v_mfma_f32_16x16x16_bf16 v[64:67], a[106:107], a[2:3], v[64:67]// 000000005820: D3E10040 1D02056A
	buffer_atomic_add_f32 v161, v9, s[32:35], 0 idxen          // 000000005828: E1342000 8008A109
	v_mfma_f32_16x16x16_bf16 v[64:67], a[108:109], a[4:5], v[64:67]// 000000005830: D3E10040 1D02096C
	v_mfma_f32_16x16x16_bf16 v[64:67], a[110:111], a[6:7], v[64:67]// 000000005838: D3E10040 1D020D6E
	ds_read_b128 v[128:131], v14 offset:13568                  // 000000005840: D9FE3500 8000000E
	ds_write_b32 v13, v41 offset:1056                          // 000000005848: D81A0420 0000290D
	v_mfma_f32_16x16x16_bf16 v[68:71], a[104:105], a[8:9], 0   // 000000005850: D3E10044 1A021168
	buffer_atomic_add_f32 v162, v8, s[32:35], 0 idxen offset:128// 000000005858: E1342080 8008A208
	v_mfma_f32_16x16x16_bf16 v[68:71], a[106:107], a[10:11], v[68:71]// 000000005860: D3E10044 1D12156A
	v_mfma_f32_16x16x16_bf16 v[68:71], a[108:109], a[12:13], v[68:71]// 000000005868: D3E10044 1D12196C
	ds_read_b128 v[132:135], v14 offset:15232                  // 000000005870: D9FE3B80 8400000E
	ds_write_b32 v13, v42 offset:2176                          // 000000005878: D81A0880 00002A0D
	v_mfma_f32_16x16x16_bf16 v[68:71], a[110:111], a[14:15], v[68:71]// 000000005880: D3E10044 1D121D6E
	v_mfma_f32_16x16x16_bf16 v[72:75], a[104:105], a[16:17], 0 // 000000005888: D3E10048 1A022168
	buffer_atomic_add_f32 v163, v9, s[32:35], 0 idxen offset:128// 000000005890: E1342080 8008A309
	v_mfma_f32_16x16x16_bf16 v[72:75], a[106:107], a[18:19], v[72:75]// 000000005898: D3E10048 1D22256A
	ds_read_b128 v[136:139], v14 offset:15744                  // 0000000058A0: D9FE3D80 8800000E
	ds_write_b32 v13, v43 offset:3232                          // 0000000058A8: D81A0CA0 00002B0D
	v_mfma_f32_16x16x16_bf16 v[72:75], a[108:109], a[20:21], v[72:75]// 0000000058B0: D3E10048 1D22296C
	v_mfma_f32_16x16x16_bf16 v[72:75], a[110:111], a[22:23], v[72:75]// 0000000058B8: D3E10048 1D222D6E
	s_cmp_lt_i32 s74, 12                                       // 0000000058C0: BF048C4A
	s_cbranch_scc0 label_0798                                  // 0000000058C4: BF8400E6
	s_mov_b32 s60, 0xffe0fffe                                  // 0000000058C8: BEBC00FF FFE0FFFE
	s_mov_b32 s61, 0xe000fe00                                  // 0000000058D0: BEBD00FF E000FE00
	s_nop 0                                                    // 0000000058D8: BF800000
	s_add_u32 s62, 0, s46                                      // 0000000058DC: 803E2E80
	s_cmp_lt_i32 s74, s62                                      // 0000000058E0: BF043E4A
	s_cbranch_scc1 label_06E2                                  // 0000000058E4: BF850028
	s_cmp_eq_i32 s74, s62                                      // 0000000058E8: BF003E4A
	s_cbranch_scc1 label_06C7                                  // 0000000058EC: BF85000B
	s_add_u32 s62, 4, s46                                      // 0000000058F0: 803E2E84
	s_cmp_lt_i32 s74, s62                                      // 0000000058F4: BF043E4A
	s_cbranch_scc1 label_0702                                  // 0000000058F8: BF850043
	s_cmp_eq_i32 s74, s62                                      // 0000000058FC: BF003E4A
	s_cbranch_scc1 label_06E7                                  // 000000005900: BF850026
	s_add_u32 s62, 8, s46                                      // 000000005904: 803E2E88
	s_cmp_lt_i32 s74, s62                                      // 000000005908: BF043E4A
	s_cbranch_scc1 label_0722                                  // 00000000590C: BF85005E
	s_cmp_eq_i32 s74, s62                                      // 000000005910: BF003E4A
	s_cbranch_scc1 label_0707                                  // 000000005914: BF850041
	s_branch label_0727                                        // 000000005918: BF820060

000000000000591c <label_06C7>:
	v_cndmask_b32_e64 v52, v52, v178, s[60:61]                 // 00000000591C: D1000034 00F36534
	s_lshl_b32 s60, s60, 1                                     // 000000005924: 8E3C813C
	s_lshl_b32 s61, s61, 1                                     // 000000005928: 8E3D813D
	s_and_b32 s60, 0xfffeffff, s60                             // 00000000592C: 863C3CFF FFFEFFFF
	s_and_b32 s61, 0xfffeffff, s61                             // 000000005934: 863D3DFF FFFEFFFF
	v_cndmask_b32_e64 v53, v53, v178, s[60:61]                 // 00000000593C: D1000035 00F36535
	s_lshl_b32 s60, s60, 1                                     // 000000005944: 8E3C813C
	s_lshl_b32 s61, s61, 1                                     // 000000005948: 8E3D813D
	s_and_b32 s60, 0xfffeffff, s60                             // 00000000594C: 863C3CFF FFFEFFFF
	s_and_b32 s61, 0xfffeffff, s61                             // 000000005954: 863D3DFF FFFEFFFF
	v_cndmask_b32_e64 v54, v54, v178, s[60:61]                 // 00000000595C: D1000036 00F36536
	s_lshl_b32 s60, s60, 1                                     // 000000005964: 8E3C813C
	s_lshl_b32 s61, s61, 1                                     // 000000005968: 8E3D813D
	s_and_b32 s60, 0xfffeffff, s60                             // 00000000596C: 863C3CFF FFFEFFFF
	s_and_b32 s61, 0xfffeffff, s61                             // 000000005974: 863D3DFF FFFEFFFF
	v_cndmask_b32_e64 v55, v55, v178, s[60:61]                 // 00000000597C: D1000037 00F36537
	s_branch label_0702                                        // 000000005984: BF820020

0000000000005988 <label_06E2>:
	v_mov_b32_e32 v52, v178                                    // 000000005988: 7E6803B2
	v_mov_b32_e32 v53, v178                                    // 00000000598C: 7E6A03B2
	v_mov_b32_e32 v54, v178                                    // 000000005990: 7E6C03B2
	v_mov_b32_e32 v55, v178                                    // 000000005994: 7E6E03B2
	s_branch label_0702                                        // 000000005998: BF82001B

000000000000599c <label_06E7>:
	v_cndmask_b32_e64 v56, v56, v178, s[60:61]                 // 00000000599C: D1000038 00F36538
	s_lshl_b32 s60, s60, 1                                     // 0000000059A4: 8E3C813C
	s_lshl_b32 s61, s61, 1                                     // 0000000059A8: 8E3D813D
	s_and_b32 s60, 0xfffeffff, s60                             // 0000000059AC: 863C3CFF FFFEFFFF
	s_and_b32 s61, 0xfffeffff, s61                             // 0000000059B4: 863D3DFF FFFEFFFF
	v_cndmask_b32_e64 v57, v57, v178, s[60:61]                 // 0000000059BC: D1000039 00F36539
	s_lshl_b32 s60, s60, 1                                     // 0000000059C4: 8E3C813C
	s_lshl_b32 s61, s61, 1                                     // 0000000059C8: 8E3D813D
	s_and_b32 s60, 0xfffeffff, s60                             // 0000000059CC: 863C3CFF FFFEFFFF
	s_and_b32 s61, 0xfffeffff, s61                             // 0000000059D4: 863D3DFF FFFEFFFF
	v_cndmask_b32_e64 v58, v58, v178, s[60:61]                 // 0000000059DC: D100003A 00F3653A
	s_lshl_b32 s60, s60, 1                                     // 0000000059E4: 8E3C813C
	s_lshl_b32 s61, s61, 1                                     // 0000000059E8: 8E3D813D
	s_and_b32 s60, 0xfffeffff, s60                             // 0000000059EC: 863C3CFF FFFEFFFF
	s_and_b32 s61, 0xfffeffff, s61                             // 0000000059F4: 863D3DFF FFFEFFFF
	v_cndmask_b32_e64 v59, v59, v178, s[60:61]                 // 0000000059FC: D100003B 00F3653B
	s_branch label_0722                                        // 000000005A04: BF820020

0000000000005a08 <label_0702>:
	v_mov_b32_e32 v56, v178                                    // 000000005A08: 7E7003B2
	v_mov_b32_e32 v57, v178                                    // 000000005A0C: 7E7203B2
	v_mov_b32_e32 v58, v178                                    // 000000005A10: 7E7403B2
	v_mov_b32_e32 v59, v178                                    // 000000005A14: 7E7603B2
	s_branch label_0722                                        // 000000005A18: BF82001B

0000000000005a1c <label_0707>:
	v_cndmask_b32_e64 v60, v60, v178, s[60:61]                 // 000000005A1C: D100003C 00F3653C
	s_lshl_b32 s60, s60, 1                                     // 000000005A24: 8E3C813C
	s_lshl_b32 s61, s61, 1                                     // 000000005A28: 8E3D813D
	s_and_b32 s60, 0xfffeffff, s60                             // 000000005A2C: 863C3CFF FFFEFFFF
	s_and_b32 s61, 0xfffeffff, s61                             // 000000005A34: 863D3DFF FFFEFFFF
	v_cndmask_b32_e64 v61, v61, v178, s[60:61]                 // 000000005A3C: D100003D 00F3653D
	s_lshl_b32 s60, s60, 1                                     // 000000005A44: 8E3C813C
	s_lshl_b32 s61, s61, 1                                     // 000000005A48: 8E3D813D
	s_and_b32 s60, 0xfffeffff, s60                             // 000000005A4C: 863C3CFF FFFEFFFF
	s_and_b32 s61, 0xfffeffff, s61                             // 000000005A54: 863D3DFF FFFEFFFF
	v_cndmask_b32_e64 v62, v62, v178, s[60:61]                 // 000000005A5C: D100003E 00F3653E
	s_lshl_b32 s60, s60, 1                                     // 000000005A64: 8E3C813C
	s_lshl_b32 s61, s61, 1                                     // 000000005A68: 8E3D813D
	s_and_b32 s60, 0xfffeffff, s60                             // 000000005A6C: 863C3CFF FFFEFFFF
	s_and_b32 s61, 0xfffeffff, s61                             // 000000005A74: 863D3DFF FFFEFFFF
	v_cndmask_b32_e64 v63, v63, v178, s[60:61]                 // 000000005A7C: D100003F 00F3653F
	s_branch label_0727                                        // 000000005A84: BF820005

0000000000005a88 <label_0722>:
	v_mov_b32_e32 v60, v178                                    // 000000005A88: 7E7803B2
	v_mov_b32_e32 v61, v178                                    // 000000005A8C: 7E7A03B2
	v_mov_b32_e32 v62, v178                                    // 000000005A90: 7E7C03B2
	v_mov_b32_e32 v63, v178                                    // 000000005A94: 7E7E03B2
	s_branch label_0727                                        // 000000005A98: BF820000

0000000000005a9c <label_0727>:
	s_addk_i32 s74, 0x1                                        // 000000005A9C: B74A0001
	s_add_u32 s62, 0, s46                                      // 000000005AA0: 803E2E80
	s_cmp_lt_i32 s74, s62                                      // 000000005AA4: BF043E4A
	s_cbranch_scc1 label_0753                                  // 000000005AA8: BF850028
	s_cmp_eq_i32 s74, s62                                      // 000000005AAC: BF003E4A
	s_cbranch_scc1 label_0738                                  // 000000005AB0: BF85000B
	s_add_u32 s62, 4, s46                                      // 000000005AB4: 803E2E84
	s_cmp_lt_i32 s74, s62                                      // 000000005AB8: BF043E4A
	s_cbranch_scc1 label_0773                                  // 000000005ABC: BF850043
	s_cmp_eq_i32 s74, s62                                      // 000000005AC0: BF003E4A
	s_cbranch_scc1 label_0758                                  // 000000005AC4: BF850026
	s_add_u32 s62, 8, s46                                      // 000000005AC8: 803E2E88
	s_cmp_lt_i32 s74, s62                                      // 000000005ACC: BF043E4A
	s_cbranch_scc1 label_0793                                  // 000000005AD0: BF85005E
	s_cmp_eq_i32 s74, s62                                      // 000000005AD4: BF003E4A
	s_cbranch_scc1 label_0778                                  // 000000005AD8: BF850041
	s_branch label_0798                                        // 000000005ADC: BF820060

0000000000005ae0 <label_0738>:
	v_cndmask_b32_e64 v64, v64, v178, s[60:61]                 // 000000005AE0: D1000040 00F36540
	s_lshl_b32 s60, s60, 1                                     // 000000005AE8: 8E3C813C
	s_lshl_b32 s61, s61, 1                                     // 000000005AEC: 8E3D813D
	s_and_b32 s60, 0xfffeffff, s60                             // 000000005AF0: 863C3CFF FFFEFFFF
	s_and_b32 s61, 0xfffeffff, s61                             // 000000005AF8: 863D3DFF FFFEFFFF
	v_cndmask_b32_e64 v65, v65, v178, s[60:61]                 // 000000005B00: D1000041 00F36541
	s_lshl_b32 s60, s60, 1                                     // 000000005B08: 8E3C813C
	s_lshl_b32 s61, s61, 1                                     // 000000005B0C: 8E3D813D
	s_and_b32 s60, 0xfffeffff, s60                             // 000000005B10: 863C3CFF FFFEFFFF
	s_and_b32 s61, 0xfffeffff, s61                             // 000000005B18: 863D3DFF FFFEFFFF
	v_cndmask_b32_e64 v66, v66, v178, s[60:61]                 // 000000005B20: D1000042 00F36542
	s_lshl_b32 s60, s60, 1                                     // 000000005B28: 8E3C813C
	s_lshl_b32 s61, s61, 1                                     // 000000005B2C: 8E3D813D
	s_and_b32 s60, 0xfffeffff, s60                             // 000000005B30: 863C3CFF FFFEFFFF
	s_and_b32 s61, 0xfffeffff, s61                             // 000000005B38: 863D3DFF FFFEFFFF
	v_cndmask_b32_e64 v67, v67, v178, s[60:61]                 // 000000005B40: D1000043 00F36543
	s_branch label_0773                                        // 000000005B48: BF820020

0000000000005b4c <label_0753>:
	v_mov_b32_e32 v64, v178                                    // 000000005B4C: 7E8003B2
	v_mov_b32_e32 v65, v178                                    // 000000005B50: 7E8203B2
	v_mov_b32_e32 v66, v178                                    // 000000005B54: 7E8403B2
	v_mov_b32_e32 v67, v178                                    // 000000005B58: 7E8603B2
	s_branch label_0773                                        // 000000005B5C: BF82001B

0000000000005b60 <label_0758>:
	v_cndmask_b32_e64 v68, v68, v178, s[60:61]                 // 000000005B60: D1000044 00F36544
	s_lshl_b32 s60, s60, 1                                     // 000000005B68: 8E3C813C
	s_lshl_b32 s61, s61, 1                                     // 000000005B6C: 8E3D813D
	s_and_b32 s60, 0xfffeffff, s60                             // 000000005B70: 863C3CFF FFFEFFFF
	s_and_b32 s61, 0xfffeffff, s61                             // 000000005B78: 863D3DFF FFFEFFFF
	v_cndmask_b32_e64 v69, v69, v178, s[60:61]                 // 000000005B80: D1000045 00F36545
	s_lshl_b32 s60, s60, 1                                     // 000000005B88: 8E3C813C
	s_lshl_b32 s61, s61, 1                                     // 000000005B8C: 8E3D813D
	s_and_b32 s60, 0xfffeffff, s60                             // 000000005B90: 863C3CFF FFFEFFFF
	s_and_b32 s61, 0xfffeffff, s61                             // 000000005B98: 863D3DFF FFFEFFFF
	v_cndmask_b32_e64 v70, v70, v178, s[60:61]                 // 000000005BA0: D1000046 00F36546
	s_lshl_b32 s60, s60, 1                                     // 000000005BA8: 8E3C813C
	s_lshl_b32 s61, s61, 1                                     // 000000005BAC: 8E3D813D
	s_and_b32 s60, 0xfffeffff, s60                             // 000000005BB0: 863C3CFF FFFEFFFF
	s_and_b32 s61, 0xfffeffff, s61                             // 000000005BB8: 863D3DFF FFFEFFFF
	v_cndmask_b32_e64 v71, v71, v178, s[60:61]                 // 000000005BC0: D1000047 00F36547
	s_branch label_0793                                        // 000000005BC8: BF820020

0000000000005bcc <label_0773>:
	v_mov_b32_e32 v68, v178                                    // 000000005BCC: 7E8803B2
	v_mov_b32_e32 v69, v178                                    // 000000005BD0: 7E8A03B2
	v_mov_b32_e32 v70, v178                                    // 000000005BD4: 7E8C03B2
	v_mov_b32_e32 v71, v178                                    // 000000005BD8: 7E8E03B2
	s_branch label_0793                                        // 000000005BDC: BF82001B

0000000000005be0 <label_0778>:
	v_cndmask_b32_e64 v72, v72, v178, s[60:61]                 // 000000005BE0: D1000048 00F36548
	s_lshl_b32 s60, s60, 1                                     // 000000005BE8: 8E3C813C
	s_lshl_b32 s61, s61, 1                                     // 000000005BEC: 8E3D813D
	s_and_b32 s60, 0xfffeffff, s60                             // 000000005BF0: 863C3CFF FFFEFFFF
	s_and_b32 s61, 0xfffeffff, s61                             // 000000005BF8: 863D3DFF FFFEFFFF
	v_cndmask_b32_e64 v73, v73, v178, s[60:61]                 // 000000005C00: D1000049 00F36549
	s_lshl_b32 s60, s60, 1                                     // 000000005C08: 8E3C813C
	s_lshl_b32 s61, s61, 1                                     // 000000005C0C: 8E3D813D
	s_and_b32 s60, 0xfffeffff, s60                             // 000000005C10: 863C3CFF FFFEFFFF
	s_and_b32 s61, 0xfffeffff, s61                             // 000000005C18: 863D3DFF FFFEFFFF
	v_cndmask_b32_e64 v74, v74, v178, s[60:61]                 // 000000005C20: D100004A 00F3654A
	s_lshl_b32 s60, s60, 1                                     // 000000005C28: 8E3C813C
	s_lshl_b32 s61, s61, 1                                     // 000000005C2C: 8E3D813D
	s_and_b32 s60, 0xfffeffff, s60                             // 000000005C30: 863C3CFF FFFEFFFF
	s_and_b32 s61, 0xfffeffff, s61                             // 000000005C38: 863D3DFF FFFEFFFF
	v_cndmask_b32_e64 v75, v75, v178, s[60:61]                 // 000000005C40: D100004B 00F3654B
	s_branch label_0798                                        // 000000005C48: BF820005

0000000000005c4c <label_0793>:
	v_mov_b32_e32 v72, v178                                    // 000000005C4C: 7E9003B2
	v_mov_b32_e32 v73, v178                                    // 000000005C50: 7E9203B2
	v_mov_b32_e32 v74, v178                                    // 000000005C54: 7E9403B2
	v_mov_b32_e32 v75, v178                                    // 000000005C58: 7E9603B2
	s_branch label_0798                                        // 000000005C5C: BF820000

0000000000005c60 <label_0798>:
	s_cmp_lt_i32 s101, 0xc0                                    // 000000005C60: BF04FF65 000000C0
	s_cbranch_scc0 label_0811                                  // 000000005C68: BF84006D
	s_cmp_le_i32 s101, 64                                      // 000000005C6C: BF05C065
	s_cbranch_scc1 label_07A4                                  // 000000005C70: BF850007
	s_cmp_le_i32 s101, 0x80                                    // 000000005C74: BF05FF65 00000080
	s_cbranch_scc1 label_07C8                                  // 000000005C7C: BF85001F
	s_cmp_lt_i32 s101, 0xc0                                    // 000000005C80: BF04FF65 000000C0
	s_cbranch_scc1 label_07EC                                  // 000000005C88: BF850040
	s_branch label_0811                                        // 000000005C8C: BF820064

0000000000005c90 <label_07A4>:
	s_mov_b32 s60, 0                                           // 000000005C90: BEBC0080
	v_and_b32_e32 v32, 15, v0                                  // 000000005C94: 2640008F
	v_add_u32_e64 v32, v32, s60                                // 000000005C98: D1340020 00007920
	v_mul_i32_i24_e64 v33, s46, 16                             // 000000005CA0: D1060021 0001202E
	v_add_u32_e32 v32, v32, v33                                // 000000005CA8: 68404320
	v_cmp_lt_u32_e64 s[60:61], v32, s101                       // 000000005CAC: D0C9003C 0000CB20
	s_nop 1                                                    // 000000005CB4: BF800001
	v_cndmask_b32_e64 v52, v178, v52, s[60:61]                 // 000000005CB8: D1000034 00F269B2
	v_cndmask_b32_e64 v64, v178, v64, s[60:61]                 // 000000005CC0: D1000040 00F281B2
	v_cndmask_b32_e64 v53, v178, v53, s[60:61]                 // 000000005CC8: D1000035 00F26BB2
	v_cndmask_b32_e64 v65, v178, v65, s[60:61]                 // 000000005CD0: D1000041 00F283B2
	v_cndmask_b32_e64 v54, v178, v54, s[60:61]                 // 000000005CD8: D1000036 00F26DB2
	v_cndmask_b32_e64 v66, v178, v66, s[60:61]                 // 000000005CE0: D1000042 00F285B2
	v_cndmask_b32_e64 v55, v178, v55, s[60:61]                 // 000000005CE8: D1000037 00F26FB2
	v_cndmask_b32_e64 v67, v178, v67, s[60:61]                 // 000000005CF0: D1000043 00F287B2
	s_branch label_07E3                                        // 000000005CF8: BF82001B

0000000000005cfc <label_07C8>:
	s_mov_b32 s60, 64                                          // 000000005CFC: BEBC00C0
	v_and_b32_e32 v32, 15, v0                                  // 000000005D00: 2640008F
	v_add_u32_e64 v32, v32, s60                                // 000000005D04: D1340020 00007920
	v_mul_i32_i24_e64 v33, s46, 16                             // 000000005D0C: D1060021 0001202E
	v_add_u32_e32 v32, v32, v33                                // 000000005D14: 68404320
	v_cmp_lt_u32_e64 s[60:61], v32, s101                       // 000000005D18: D0C9003C 0000CB20
	s_nop 1                                                    // 000000005D20: BF800001
	v_cndmask_b32_e64 v56, v178, v56, s[60:61]                 // 000000005D24: D1000038 00F271B2
	v_cndmask_b32_e64 v68, v178, v68, s[60:61]                 // 000000005D2C: D1000044 00F289B2
	v_cndmask_b32_e64 v57, v178, v57, s[60:61]                 // 000000005D34: D1000039 00F273B2
	v_cndmask_b32_e64 v69, v178, v69, s[60:61]                 // 000000005D3C: D1000045 00F28BB2
	v_cndmask_b32_e64 v58, v178, v58, s[60:61]                 // 000000005D44: D100003A 00F275B2
	v_cndmask_b32_e64 v70, v178, v70, s[60:61]                 // 000000005D4C: D1000046 00F28DB2
	v_cndmask_b32_e64 v59, v178, v59, s[60:61]                 // 000000005D54: D100003B 00F277B2
	v_cndmask_b32_e64 v71, v178, v71, s[60:61]                 // 000000005D5C: D1000047 00F28FB2
	s_branch label_0808                                        // 000000005D64: BF820025

0000000000005d68 <label_07E3>:
	v_mov_b32_e32 v56, v178                                    // 000000005D68: 7E7003B2
	v_mov_b32_e32 v68, v178                                    // 000000005D6C: 7E8803B2
	v_mov_b32_e32 v57, v178                                    // 000000005D70: 7E7203B2
	v_mov_b32_e32 v69, v178                                    // 000000005D74: 7E8A03B2
	v_mov_b32_e32 v58, v178                                    // 000000005D78: 7E7403B2
	v_mov_b32_e32 v70, v178                                    // 000000005D7C: 7E8C03B2
	v_mov_b32_e32 v59, v178                                    // 000000005D80: 7E7603B2
	v_mov_b32_e32 v71, v178                                    // 000000005D84: 7E8E03B2
	s_branch label_0808                                        // 000000005D88: BF82001C

0000000000005d8c <label_07EC>:
	s_mov_b32 s60, 0x80                                        // 000000005D8C: BEBC00FF 00000080
	v_and_b32_e32 v32, 15, v0                                  // 000000005D94: 2640008F
	v_add_u32_e64 v32, v32, s60                                // 000000005D98: D1340020 00007920
	v_mul_i32_i24_e64 v33, s46, 16                             // 000000005DA0: D1060021 0001202E
	v_add_u32_e32 v32, v32, v33                                // 000000005DA8: 68404320
	v_cmp_lt_u32_e64 s[60:61], v32, s101                       // 000000005DAC: D0C9003C 0000CB20
	s_nop 1                                                    // 000000005DB4: BF800001
	v_cndmask_b32_e64 v60, v178, v60, s[60:61]                 // 000000005DB8: D100003C 00F279B2
	v_cndmask_b32_e64 v72, v178, v72, s[60:61]                 // 000000005DC0: D1000048 00F291B2
	v_cndmask_b32_e64 v61, v178, v61, s[60:61]                 // 000000005DC8: D100003D 00F27BB2
	v_cndmask_b32_e64 v73, v178, v73, s[60:61]                 // 000000005DD0: D1000049 00F293B2
	v_cndmask_b32_e64 v62, v178, v62, s[60:61]                 // 000000005DD8: D100003E 00F27DB2
	v_cndmask_b32_e64 v74, v178, v74, s[60:61]                 // 000000005DE0: D100004A 00F295B2
	v_cndmask_b32_e64 v63, v178, v63, s[60:61]                 // 000000005DE8: D100003F 00F27FB2
	v_cndmask_b32_e64 v75, v178, v75, s[60:61]                 // 000000005DF0: D100004B 00F297B2
	s_branch label_0811                                        // 000000005DF8: BF820009

0000000000005dfc <label_0808>:
	v_mov_b32_e32 v60, v178                                    // 000000005DFC: 7E7803B2
	v_mov_b32_e32 v72, v178                                    // 000000005E00: 7E9003B2
	v_mov_b32_e32 v61, v178                                    // 000000005E04: 7E7A03B2
	v_mov_b32_e32 v73, v178                                    // 000000005E08: 7E9203B2
	v_mov_b32_e32 v62, v178                                    // 000000005E0C: 7E7C03B2
	v_mov_b32_e32 v74, v178                                    // 000000005E10: 7E9403B2
	v_mov_b32_e32 v63, v178                                    // 000000005E14: 7E7E03B2
	v_mov_b32_e32 v75, v178                                    // 000000005E18: 7E9603B2
	s_branch label_0811                                        // 000000005E1C: BF820000

0000000000005e20 <label_0811>:
	s_addk_i32 s74, 0x1                                        // 000000005E20: B74A0001
	s_waitcnt lgkmcnt(8)                                       // 000000005E24: BF8CC87F
	s_barrier                                                  // 000000005E28: BF8A0000
	v_mfma_f32_16x16x16_bf16 v[76:79], v[108:109], a[72:73], 0 // 000000005E2C: D3E1004C 1202916C
	ds_read_b128 a[96:99], v14 offset:4352                     // 000000005E34: DBFE1100 6000000E
	ds_read_b128 a[100:103], v14 offset:4864                   // 000000005E3C: DBFE1300 6400000E
	v_mfma_f32_16x16x16_bf16 v[76:79], v[110:111], a[74:75], v[76:79]// 000000005E44: D3E1004C 1532956E
	v_fma_f32 v52, v52, s57, -v140                             // 000000005E4C: D1CB0034 86307334
	v_fma_f32 v53, v53, s57, -v141                             // 000000005E54: D1CB0035 86347335
	v_fma_f32 v54, v54, s57, -v142                             // 000000005E5C: D1CB0036 86387336
	v_fma_f32 v55, v55, s57, -v143                             // 000000005E64: D1CB0037 863C7337
	v_fma_f32 v56, v56, s57, -v140                             // 000000005E6C: D1CB0038 86307338
	v_fma_f32 v57, v57, s57, -v141                             // 000000005E74: D1CB0039 86347339
	v_mfma_f32_16x16x16_bf16 v[76:79], v[112:113], a[76:77], v[76:79]// 000000005E7C: D3E1004C 15329970
	v_fma_f32 v58, v58, s57, -v142                             // 000000005E84: D1CB003A 8638733A
	v_fma_f32 v59, v59, s57, -v143                             // 000000005E8C: D1CB003B 863C733B
	v_fma_f32 v60, v60, s57, -v140                             // 000000005E94: D1CB003C 8630733C
	v_fma_f32 v61, v61, s57, -v141                             // 000000005E9C: D1CB003D 8634733D
	v_fma_f32 v62, v62, s57, -v142                             // 000000005EA4: D1CB003E 8638733E
	v_fma_f32 v63, v63, s57, -v143                             // 000000005EAC: D1CB003F 863C733F
	v_mfma_f32_16x16x16_bf16 v[76:79], v[114:115], a[78:79], v[76:79]// 000000005EB4: D3E1004C 15329D72
	v_fma_f32 v64, v64, s57, -v144                             // 000000005EBC: D1CB0040 86407340
	v_fma_f32 v65, v65, s57, -v145                             // 000000005EC4: D1CB0041 86447341
	v_fma_f32 v66, v66, s57, -v146                             // 000000005ECC: D1CB0042 86487342
	v_fma_f32 v67, v67, s57, -v147                             // 000000005ED4: D1CB0043 864C7343
	v_fma_f32 v68, v68, s57, -v144                             // 000000005EDC: D1CB0044 86407344
	v_fma_f32 v69, v69, s57, -v145                             // 000000005EE4: D1CB0045 86447345
	v_mfma_f32_16x16x16_bf16 v[80:83], v[108:109], a[80:81], 0 // 000000005EEC: D3E10050 1202A16C
	ds_read_b128 a[104:107], v14 offset:6528                   // 000000005EF4: DBFE1980 6800000E
	ds_read_b128 a[108:111], v14 offset:7040                   // 000000005EFC: DBFE1B80 6C00000E
	v_mfma_f32_16x16x16_bf16 v[80:83], v[110:111], a[82:83], v[80:83]// 000000005F04: D3E10050 1542A56E
	v_fma_f32 v70, v70, s57, -v146                             // 000000005F0C: D1CB0046 86487346
	v_fma_f32 v71, v71, s57, -v147                             // 000000005F14: D1CB0047 864C7347
	v_fma_f32 v72, v72, s57, -v144                             // 000000005F1C: D1CB0048 86407348
	v_fma_f32 v73, v73, s57, -v145                             // 000000005F24: D1CB0049 86447349
	v_fma_f32 v74, v74, s57, -v146                             // 000000005F2C: D1CB004A 8648734A
	v_fma_f32 v75, v75, s57, -v147                             // 000000005F34: D1CB004B 864C734B
	v_mfma_f32_16x16x16_bf16 v[80:83], v[112:113], a[84:85], v[80:83]// 000000005F3C: D3E10050 1542A970
	v_exp_f32_e32 v52, v52                                     // 000000005F44: 7E684134
	v_exp_f32_e32 v53, v53                                     // 000000005F48: 7E6A4135
	v_mfma_f32_16x16x16_bf16 v[80:83], v[114:115], a[86:87], v[80:83]// 000000005F4C: D3E10050 1542AD72
	v_exp_f32_e32 v54, v54                                     // 000000005F54: 7E6C4136
	v_exp_f32_e32 v55, v55                                     // 000000005F58: 7E6E4137
	v_mfma_f32_16x16x16_bf16 v[84:87], v[108:109], a[88:89], 0 // 000000005F5C: D3E10054 1202B16C
	ds_read_b64 v[156:157], v21 offset:31232                   // 000000005F64: D8EC7A00 9C000015
	ds_read_b64 v[158:159], v21 offset:33280                   // 000000005F6C: D8EC8200 9E000015
	v_mfma_f32_16x16x16_bf16 v[84:87], v[110:111], a[90:91], v[84:87]// 000000005F74: D3E10054 1552B56E
	v_exp_f32_e32 v56, v56                                     // 000000005F7C: 7E704138
	v_exp_f32_e32 v57, v57                                     // 000000005F80: 7E724139
	v_mfma_f32_16x16x16_bf16 v[84:87], v[112:113], a[92:93], v[84:87]// 000000005F84: D3E10054 1552B970
	ds_read_b64 v[160:161], v21 offset:35328                   // 000000005F8C: D8EC8A00 A0000015
	ds_read_b64 v[162:163], v21 offset:37376                   // 000000005F94: D8EC9200 A2000015
	v_mfma_f32_16x16x16_bf16 v[84:87], v[114:115], a[94:95], v[84:87]// 000000005F9C: D3E10054 1552BD72
	v_exp_f32_e32 v58, v58                                     // 000000005FA4: 7E74413A
	v_exp_f32_e32 v59, v59                                     // 000000005FA8: 7E76413B
	v_mfma_f32_16x16x16_bf16 v[88:91], v[116:117], a[72:73], 0 // 000000005FAC: D3E10058 12029174
	v_exp_f32_e32 v60, v60                                     // 000000005FB4: 7E78413C
	v_exp_f32_e32 v61, v61                                     // 000000005FB8: 7E7A413D
	v_mfma_f32_16x16x16_bf16 v[88:91], v[118:119], a[74:75], v[88:91]// 000000005FBC: D3E10058 15629576
	v_exp_f32_e32 v62, v62                                     // 000000005FC4: 7E7C413E
	v_exp_f32_e32 v63, v63                                     // 000000005FC8: 7E7E413F
	v_mfma_f32_16x16x16_bf16 v[88:91], v[120:121], a[76:77], v[88:91]// 000000005FCC: D3E10058 15629978
	v_exp_f32_e32 v64, v64                                     // 000000005FD4: 7E804140
	v_exp_f32_e32 v65, v65                                     // 000000005FD8: 7E824141
	v_mfma_f32_16x16x16_bf16 v[88:91], v[122:123], a[78:79], v[88:91]// 000000005FDC: D3E10058 15629D7A
	v_exp_f32_e32 v66, v66                                     // 000000005FE4: 7E844142
	v_exp_f32_e32 v67, v67                                     // 000000005FE8: 7E864143
	v_mfma_f32_16x16x16_bf16 v[92:95], v[116:117], a[80:81], 0 // 000000005FEC: D3E1005C 1202A174
	v_exp_f32_e32 v68, v68                                     // 000000005FF4: 7E884144
	v_exp_f32_e32 v69, v69                                     // 000000005FF8: 7E8A4145
	v_mfma_f32_16x16x16_bf16 v[92:95], v[118:119], a[82:83], v[92:95]// 000000005FFC: D3E1005C 1572A576
	v_exp_f32_e32 v70, v70                                     // 000000006004: 7E8C4146
	v_exp_f32_e32 v71, v71                                     // 000000006008: 7E8E4147
	v_mfma_f32_16x16x16_bf16 v[92:95], v[120:121], a[84:85], v[92:95]// 00000000600C: D3E1005C 1572A978
	v_exp_f32_e32 v72, v72                                     // 000000006014: 7E904148
	v_exp_f32_e32 v73, v73                                     // 000000006018: 7E924149
	v_mfma_f32_16x16x16_bf16 v[92:95], v[122:123], a[86:87], v[92:95]// 00000000601C: D3E1005C 1572AD7A
	v_exp_f32_e32 v74, v74                                     // 000000006024: 7E94414A
	v_exp_f32_e32 v75, v75                                     // 000000006028: 7E96414B
	v_mfma_f32_16x16x16_bf16 v[96:99], v[116:117], a[88:89], 0 // 00000000602C: D3E10060 1202B174
	v_cmp_u_f32_e64 s[78:79], v52, v52                         // 000000006034: D048004E 00026934
	v_bfe_u32 v228, v52, 16, 1                                 // 00000000603C: D1C800E4 02052134
	v_add3_u32 v228, v52, v228, v231                           // 000000006044: D1FF00E4 079FC934
	v_cndmask_b32_e64 v32, v228, v230, s[78:79]                // 00000000604C: D1000020 013BCDE4
	v_lshrrev_b32_e32 v32, 16, v32                             // 000000006054: 20404090
	v_cmp_u_f32_e64 s[78:79], v53, v53                         // 000000006058: D048004E 00026B35
	v_bfe_u32 v228, v53, 16, 1                                 // 000000006060: D1C800E4 02052135
	v_add3_u32 v228, v53, v228, v231                           // 000000006068: D1FF00E4 079FC935
	v_cndmask_b32_e64 v33, v228, v230, s[78:79]                // 000000006070: D1000021 013BCDE4
	v_and_or_b32 v164, v33, v229, v32                          // 000000006078: D20100A4 0483CB21
	v_cmp_u_f32_e64 s[78:79], v54, v54                         // 000000006080: D048004E 00026D36
	v_bfe_u32 v228, v54, 16, 1                                 // 000000006088: D1C800E4 02052136
	v_add3_u32 v228, v54, v228, v231                           // 000000006090: D1FF00E4 079FC936
	v_cndmask_b32_e64 v32, v228, v230, s[78:79]                // 000000006098: D1000020 013BCDE4
	v_lshrrev_b32_e32 v32, 16, v32                             // 0000000060A0: 20404090
	v_cmp_u_f32_e64 s[78:79], v55, v55                         // 0000000060A4: D048004E 00026F37
	v_bfe_u32 v228, v55, 16, 1                                 // 0000000060AC: D1C800E4 02052137
	v_add3_u32 v228, v55, v228, v231                           // 0000000060B4: D1FF00E4 079FC937
	v_cndmask_b32_e64 v33, v228, v230, s[78:79]                // 0000000060BC: D1000021 013BCDE4
	v_and_or_b32 v165, v33, v229, v32                          // 0000000060C4: D20100A5 0483CB21
	v_cmp_u_f32_e64 s[78:79], v56, v56                         // 0000000060CC: D048004E 00027138
	v_bfe_u32 v228, v56, 16, 1                                 // 0000000060D4: D1C800E4 02052138
	v_add3_u32 v228, v56, v228, v231                           // 0000000060DC: D1FF00E4 079FC938
	v_cndmask_b32_e64 v32, v228, v230, s[78:79]                // 0000000060E4: D1000020 013BCDE4
	v_lshrrev_b32_e32 v32, 16, v32                             // 0000000060EC: 20404090
	v_cmp_u_f32_e64 s[78:79], v57, v57                         // 0000000060F0: D048004E 00027339
	v_bfe_u32 v228, v57, 16, 1                                 // 0000000060F8: D1C800E4 02052139
	v_add3_u32 v228, v57, v228, v231                           // 000000006100: D1FF00E4 079FC939
	v_cndmask_b32_e64 v33, v228, v230, s[78:79]                // 000000006108: D1000021 013BCDE4
	v_and_or_b32 v166, v33, v229, v32                          // 000000006110: D20100A6 0483CB21
	v_cmp_u_f32_e64 s[78:79], v58, v58                         // 000000006118: D048004E 0002753A
	v_bfe_u32 v228, v58, 16, 1                                 // 000000006120: D1C800E4 0205213A
	v_add3_u32 v228, v58, v228, v231                           // 000000006128: D1FF00E4 079FC93A
	v_cndmask_b32_e64 v32, v228, v230, s[78:79]                // 000000006130: D1000020 013BCDE4
	v_lshrrev_b32_e32 v32, 16, v32                             // 000000006138: 20404090
	v_cmp_u_f32_e64 s[78:79], v59, v59                         // 00000000613C: D048004E 0002773B
	v_bfe_u32 v228, v59, 16, 1                                 // 000000006144: D1C800E4 0205213B
	v_add3_u32 v228, v59, v228, v231                           // 00000000614C: D1FF00E4 079FC93B
	v_cndmask_b32_e64 v33, v228, v230, s[78:79]                // 000000006154: D1000021 013BCDE4
	v_and_or_b32 v167, v33, v229, v32                          // 00000000615C: D20100A7 0483CB21
	v_cmp_u_f32_e64 s[78:79], v60, v60                         // 000000006164: D048004E 0002793C
	v_bfe_u32 v228, v60, 16, 1                                 // 00000000616C: D1C800E4 0205213C
	v_add3_u32 v228, v60, v228, v231                           // 000000006174: D1FF00E4 079FC93C
	v_cndmask_b32_e64 v32, v228, v230, s[78:79]                // 00000000617C: D1000020 013BCDE4
	v_lshrrev_b32_e32 v32, 16, v32                             // 000000006184: 20404090
	v_cmp_u_f32_e64 s[78:79], v61, v61                         // 000000006188: D048004E 00027B3D
	v_bfe_u32 v228, v61, 16, 1                                 // 000000006190: D1C800E4 0205213D
	v_add3_u32 v228, v61, v228, v231                           // 000000006198: D1FF00E4 079FC93D
	v_cndmask_b32_e64 v33, v228, v230, s[78:79]                // 0000000061A0: D1000021 013BCDE4
	v_and_or_b32 v168, v33, v229, v32                          // 0000000061A8: D20100A8 0483CB21
	v_cmp_u_f32_e64 s[78:79], v62, v62                         // 0000000061B0: D048004E 00027D3E
	v_bfe_u32 v228, v62, 16, 1                                 // 0000000061B8: D1C800E4 0205213E
	v_add3_u32 v228, v62, v228, v231                           // 0000000061C0: D1FF00E4 079FC93E
	v_cndmask_b32_e64 v32, v228, v230, s[78:79]                // 0000000061C8: D1000020 013BCDE4
	v_lshrrev_b32_e32 v32, 16, v32                             // 0000000061D0: 20404090
	v_cmp_u_f32_e64 s[78:79], v63, v63                         // 0000000061D4: D048004E 00027F3F
	v_bfe_u32 v228, v63, 16, 1                                 // 0000000061DC: D1C800E4 0205213F
	v_add3_u32 v228, v63, v228, v231                           // 0000000061E4: D1FF00E4 079FC93F
	v_cndmask_b32_e64 v33, v228, v230, s[78:79]                // 0000000061EC: D1000021 013BCDE4
	v_and_or_b32 v169, v33, v229, v32                          // 0000000061F4: D20100A9 0483CB21
	v_mfma_f32_16x16x16_bf16 v[96:99], v[118:119], a[90:91], v[96:99]// 0000000061FC: D3E10060 1582B576
	v_cmp_u_f32_e64 s[78:79], v64, v64                         // 000000006204: D048004E 00028140
	v_bfe_u32 v228, v64, 16, 1                                 // 00000000620C: D1C800E4 02052140
	v_add3_u32 v228, v64, v228, v231                           // 000000006214: D1FF00E4 079FC940
	v_cndmask_b32_e64 v32, v228, v230, s[78:79]                // 00000000621C: D1000020 013BCDE4
	v_lshrrev_b32_e32 v32, 16, v32                             // 000000006224: 20404090
	v_cmp_u_f32_e64 s[78:79], v65, v65                         // 000000006228: D048004E 00028341
	v_bfe_u32 v228, v65, 16, 1                                 // 000000006230: D1C800E4 02052141
	v_add3_u32 v228, v65, v228, v231                           // 000000006238: D1FF00E4 079FC941
	v_cndmask_b32_e64 v33, v228, v230, s[78:79]                // 000000006240: D1000021 013BCDE4
	v_and_or_b32 v170, v33, v229, v32                          // 000000006248: D20100AA 0483CB21
	v_cmp_u_f32_e64 s[78:79], v66, v66                         // 000000006250: D048004E 00028542
	v_bfe_u32 v228, v66, 16, 1                                 // 000000006258: D1C800E4 02052142
	v_add3_u32 v228, v66, v228, v231                           // 000000006260: D1FF00E4 079FC942
	v_cndmask_b32_e64 v32, v228, v230, s[78:79]                // 000000006268: D1000020 013BCDE4
	v_lshrrev_b32_e32 v32, 16, v32                             // 000000006270: 20404090
	v_cmp_u_f32_e64 s[78:79], v67, v67                         // 000000006274: D048004E 00028743
	v_bfe_u32 v228, v67, 16, 1                                 // 00000000627C: D1C800E4 02052143
	v_add3_u32 v228, v67, v228, v231                           // 000000006284: D1FF00E4 079FC943
	v_cndmask_b32_e64 v33, v228, v230, s[78:79]                // 00000000628C: D1000021 013BCDE4
	v_and_or_b32 v171, v33, v229, v32                          // 000000006294: D20100AB 0483CB21
	v_cmp_u_f32_e64 s[78:79], v68, v68                         // 00000000629C: D048004E 00028944
	v_bfe_u32 v228, v68, 16, 1                                 // 0000000062A4: D1C800E4 02052144
	v_add3_u32 v228, v68, v228, v231                           // 0000000062AC: D1FF00E4 079FC944
	v_cndmask_b32_e64 v32, v228, v230, s[78:79]                // 0000000062B4: D1000020 013BCDE4
	v_lshrrev_b32_e32 v32, 16, v32                             // 0000000062BC: 20404090
	v_cmp_u_f32_e64 s[78:79], v69, v69                         // 0000000062C0: D048004E 00028B45
	v_bfe_u32 v228, v69, 16, 1                                 // 0000000062C8: D1C800E4 02052145
	v_add3_u32 v228, v69, v228, v231                           // 0000000062D0: D1FF00E4 079FC945
	v_cndmask_b32_e64 v33, v228, v230, s[78:79]                // 0000000062D8: D1000021 013BCDE4
	v_and_or_b32 v172, v33, v229, v32                          // 0000000062E0: D20100AC 0483CB21
	v_cmp_u_f32_e64 s[78:79], v70, v70                         // 0000000062E8: D048004E 00028D46
	v_bfe_u32 v228, v70, 16, 1                                 // 0000000062F0: D1C800E4 02052146
	v_add3_u32 v228, v70, v228, v231                           // 0000000062F8: D1FF00E4 079FC946
	v_cndmask_b32_e64 v32, v228, v230, s[78:79]                // 000000006300: D1000020 013BCDE4
	v_lshrrev_b32_e32 v32, 16, v32                             // 000000006308: 20404090
	v_cmp_u_f32_e64 s[78:79], v71, v71                         // 00000000630C: D048004E 00028F47
	v_bfe_u32 v228, v71, 16, 1                                 // 000000006314: D1C800E4 02052147
	v_add3_u32 v228, v71, v228, v231                           // 00000000631C: D1FF00E4 079FC947
	v_cndmask_b32_e64 v33, v228, v230, s[78:79]                // 000000006324: D1000021 013BCDE4
	v_and_or_b32 v173, v33, v229, v32                          // 00000000632C: D20100AD 0483CB21
	v_cmp_u_f32_e64 s[78:79], v72, v72                         // 000000006334: D048004E 00029148
	v_bfe_u32 v228, v72, 16, 1                                 // 00000000633C: D1C800E4 02052148
	v_add3_u32 v228, v72, v228, v231                           // 000000006344: D1FF00E4 079FC948
	v_cndmask_b32_e64 v32, v228, v230, s[78:79]                // 00000000634C: D1000020 013BCDE4
	v_lshrrev_b32_e32 v32, 16, v32                             // 000000006354: 20404090
	v_cmp_u_f32_e64 s[78:79], v73, v73                         // 000000006358: D048004E 00029349
	v_bfe_u32 v228, v73, 16, 1                                 // 000000006360: D1C800E4 02052149
	v_add3_u32 v228, v73, v228, v231                           // 000000006368: D1FF00E4 079FC949
	v_cndmask_b32_e64 v33, v228, v230, s[78:79]                // 000000006370: D1000021 013BCDE4
	v_and_or_b32 v174, v33, v229, v32                          // 000000006378: D20100AE 0483CB21
	v_cmp_u_f32_e64 s[78:79], v74, v74                         // 000000006380: D048004E 0002954A
	v_bfe_u32 v228, v74, 16, 1                                 // 000000006388: D1C800E4 0205214A
	v_add3_u32 v228, v74, v228, v231                           // 000000006390: D1FF00E4 079FC94A
	v_cndmask_b32_e64 v32, v228, v230, s[78:79]                // 000000006398: D1000020 013BCDE4
	v_lshrrev_b32_e32 v32, 16, v32                             // 0000000063A0: 20404090
	v_cmp_u_f32_e64 s[78:79], v75, v75                         // 0000000063A4: D048004E 0002974B
	v_bfe_u32 v228, v75, 16, 1                                 // 0000000063AC: D1C800E4 0205214B
	v_add3_u32 v228, v75, v228, v231                           // 0000000063B4: D1FF00E4 079FC94B
	v_cndmask_b32_e64 v33, v228, v230, s[78:79]                // 0000000063BC: D1000021 013BCDE4
	v_and_or_b32 v175, v33, v229, v32                          // 0000000063C4: D20100AF 0483CB21
	v_mfma_f32_16x16x16_bf16 v[96:99], v[120:121], a[92:93], v[96:99]// 0000000063CC: D3E10060 1582B978
	v_add_u32_e32 v6, s66, v6                                  // 0000000063D4: 680C0C42
	v_add_u32_e32 v7, s66, v7                                  // 0000000063D8: 680E0E42
	v_add_u32_e32 v8, s66, v8                                  // 0000000063DC: 68101042
	v_add_u32_e32 v9, s66, v9                                  // 0000000063E0: 68121242
	v_mfma_f32_16x16x16_bf16 v[96:99], v[122:123], a[94:95], v[96:99]// 0000000063E4: D3E10060 1582BD7A
	s_waitcnt lgkmcnt(0)                                       // 0000000063EC: BF8CC07F
	s_barrier                                                  // 0000000063F0: BF8A0000
	v_mfma_f32_16x16x16_bf16 v[180:183], v[124:125], v[164:165], v[180:183]// 0000000063F4: D3E100B4 06D3497C
	v_subrev_f32_dpp v76, v176, v76 quad_perm:[0,0,0,0] row_mask:0xf bank_mask:0xf// 0000000063FC: 069898FA FF0000B0
	v_subrev_f32_dpp v77, v176, v77 quad_perm:[1,1,1,1] row_mask:0xf bank_mask:0xf// 000000006404: 069A9AFA FF0055B0
	v_subrev_f32_dpp v78, v176, v78 quad_perm:[2,2,2,2] row_mask:0xf bank_mask:0xf// 00000000640C: 069C9CFA FF00AAB0
	v_subrev_f32_dpp v79, v176, v79 quad_perm:[3,3,3,3] row_mask:0xf bank_mask:0xf// 000000006414: 069E9EFA FF00FFB0
	v_subrev_f32_dpp v80, v176, v80 quad_perm:[0,0,0,0] row_mask:0xf bank_mask:0xf// 00000000641C: 06A0A0FA FF0000B0
	v_subrev_f32_dpp v81, v176, v81 quad_perm:[1,1,1,1] row_mask:0xf bank_mask:0xf// 000000006424: 06A2A2FA FF0055B0
	v_mfma_f32_16x16x16_bf16 v[184:187], v[126:127], v[164:165], v[184:187]// 00000000642C: D3E100B8 06E3497E
	v_subrev_f32_dpp v82, v176, v82 quad_perm:[2,2,2,2] row_mask:0xf bank_mask:0xf// 000000006434: 06A4A4FA FF00AAB0
	v_subrev_f32_dpp v83, v176, v83 quad_perm:[3,3,3,3] row_mask:0xf bank_mask:0xf// 00000000643C: 06A6A6FA FF00FFB0
	v_subrev_f32_dpp v84, v176, v84 quad_perm:[0,0,0,0] row_mask:0xf bank_mask:0xf// 000000006444: 06A8A8FA FF0000B0
	v_subrev_f32_dpp v85, v176, v85 quad_perm:[1,1,1,1] row_mask:0xf bank_mask:0xf// 00000000644C: 06AAAAFA FF0055B0
	v_subrev_f32_dpp v86, v176, v86 quad_perm:[2,2,2,2] row_mask:0xf bank_mask:0xf// 000000006454: 06ACACFA FF00AAB0
	v_subrev_f32_dpp v87, v176, v87 quad_perm:[3,3,3,3] row_mask:0xf bank_mask:0xf// 00000000645C: 06AEAEFA FF00FFB0
	v_mfma_f32_16x16x16_bf16 v[188:191], v[128:129], v[164:165], v[188:191]// 000000006464: D3E100BC 06F34980
	v_mul_f32_e32 v76, v52, v76                                // 00000000646C: 0A989934
	v_mul_f32_e32 v77, v53, v77                                // 000000006470: 0A9A9B35
	v_mul_f32_e32 v78, v54, v78                                // 000000006474: 0A9C9D36
	v_mul_f32_e32 v79, v55, v79                                // 000000006478: 0A9E9F37
	v_mul_f32_e32 v80, v56, v80                                // 00000000647C: 0AA0A138
	v_mul_f32_e32 v81, v57, v81                                // 000000006480: 0AA2A339
	v_mfma_f32_16x16x16_bf16 v[192:195], v[130:131], v[164:165], v[192:195]// 000000006484: D3E100C0 07034982
	v_mul_f32_e32 v82, v58, v82                                // 00000000648C: 0AA4A53A
	v_mul_f32_e32 v83, v59, v83                                // 000000006490: 0AA6A73B
	v_mul_f32_e32 v84, v60, v84                                // 000000006494: 0AA8A93C
	v_mul_f32_e32 v85, v61, v85                                // 000000006498: 0AAAAB3D
	v_mul_f32_e32 v86, v62, v86                                // 00000000649C: 0AACAD3E
	v_mul_f32_e32 v87, v63, v87                                // 0000000064A0: 0AAEAF3F
	v_mfma_f32_16x16x16_bf16 v[196:199], v[124:125], v[166:167], v[196:199]// 0000000064A4: D3E100C4 07134D7C
	v_cmp_u_f32_e64 s[78:79], v76, v76                         // 0000000064AC: D048004E 0002994C
	v_bfe_u32 v228, v76, 16, 1                                 // 0000000064B4: D1C800E4 0205214C
	v_add3_u32 v228, v76, v228, v231                           // 0000000064BC: D1FF00E4 079FC94C
	v_cndmask_b32_e64 v32, v228, v230, s[78:79]                // 0000000064C4: D1000020 013BCDE4
	v_lshrrev_b32_e32 v32, 16, v32                             // 0000000064CC: 20404090
	v_cmp_u_f32_e64 s[78:79], v77, v77                         // 0000000064D0: D048004E 00029B4D
	v_bfe_u32 v228, v77, 16, 1                                 // 0000000064D8: D1C800E4 0205214D
	v_add3_u32 v228, v77, v228, v231                           // 0000000064E0: D1FF00E4 079FC94D
	v_cndmask_b32_e64 v33, v228, v230, s[78:79]                // 0000000064E8: D1000021 013BCDE4
	v_and_or_b32 v76, v33, v229, v32                           // 0000000064F0: D201004C 0483CB21
	v_cmp_u_f32_e64 s[78:79], v78, v78                         // 0000000064F8: D048004E 00029D4E
	v_bfe_u32 v228, v78, 16, 1                                 // 000000006500: D1C800E4 0205214E
	v_add3_u32 v228, v78, v228, v231                           // 000000006508: D1FF00E4 079FC94E
	v_cndmask_b32_e64 v32, v228, v230, s[78:79]                // 000000006510: D1000020 013BCDE4
	v_lshrrev_b32_e32 v32, 16, v32                             // 000000006518: 20404090
	v_cmp_u_f32_e64 s[78:79], v79, v79                         // 00000000651C: D048004E 00029F4F
	v_bfe_u32 v228, v79, 16, 1                                 // 000000006524: D1C800E4 0205214F
	v_add3_u32 v228, v79, v228, v231                           // 00000000652C: D1FF00E4 079FC94F
	v_cndmask_b32_e64 v33, v228, v230, s[78:79]                // 000000006534: D1000021 013BCDE4
	v_and_or_b32 v77, v33, v229, v32                           // 00000000653C: D201004D 0483CB21
	v_cmp_u_f32_e64 s[78:79], v80, v80                         // 000000006544: D048004E 0002A150
	v_bfe_u32 v228, v80, 16, 1                                 // 00000000654C: D1C800E4 02052150
	v_add3_u32 v228, v80, v228, v231                           // 000000006554: D1FF00E4 079FC950
	v_cndmask_b32_e64 v32, v228, v230, s[78:79]                // 00000000655C: D1000020 013BCDE4
	v_lshrrev_b32_e32 v32, 16, v32                             // 000000006564: 20404090
	v_cmp_u_f32_e64 s[78:79], v81, v81                         // 000000006568: D048004E 0002A351
	v_bfe_u32 v228, v81, 16, 1                                 // 000000006570: D1C800E4 02052151
	v_add3_u32 v228, v81, v228, v231                           // 000000006578: D1FF00E4 079FC951
	v_cndmask_b32_e64 v33, v228, v230, s[78:79]                // 000000006580: D1000021 013BCDE4
	v_and_or_b32 v78, v33, v229, v32                           // 000000006588: D201004E 0483CB21
	v_cmp_u_f32_e64 s[78:79], v82, v82                         // 000000006590: D048004E 0002A552
	v_bfe_u32 v228, v82, 16, 1                                 // 000000006598: D1C800E4 02052152
	v_add3_u32 v228, v82, v228, v231                           // 0000000065A0: D1FF00E4 079FC952
	v_cndmask_b32_e64 v32, v228, v230, s[78:79]                // 0000000065A8: D1000020 013BCDE4
	v_lshrrev_b32_e32 v32, 16, v32                             // 0000000065B0: 20404090
	v_cmp_u_f32_e64 s[78:79], v83, v83                         // 0000000065B4: D048004E 0002A753
	v_bfe_u32 v228, v83, 16, 1                                 // 0000000065BC: D1C800E4 02052153
	v_add3_u32 v228, v83, v228, v231                           // 0000000065C4: D1FF00E4 079FC953
	v_cndmask_b32_e64 v33, v228, v230, s[78:79]                // 0000000065CC: D1000021 013BCDE4
	v_and_or_b32 v79, v33, v229, v32                           // 0000000065D4: D201004F 0483CB21
	v_cmp_u_f32_e64 s[78:79], v84, v84                         // 0000000065DC: D048004E 0002A954
	v_bfe_u32 v228, v84, 16, 1                                 // 0000000065E4: D1C800E4 02052154
	v_add3_u32 v228, v84, v228, v231                           // 0000000065EC: D1FF00E4 079FC954
	v_cndmask_b32_e64 v32, v228, v230, s[78:79]                // 0000000065F4: D1000020 013BCDE4
	v_lshrrev_b32_e32 v32, 16, v32                             // 0000000065FC: 20404090
	v_cmp_u_f32_e64 s[78:79], v85, v85                         // 000000006600: D048004E 0002AB55
	v_bfe_u32 v228, v85, 16, 1                                 // 000000006608: D1C800E4 02052155
	v_add3_u32 v228, v85, v228, v231                           // 000000006610: D1FF00E4 079FC955
	v_cndmask_b32_e64 v33, v228, v230, s[78:79]                // 000000006618: D1000021 013BCDE4
	v_and_or_b32 v80, v33, v229, v32                           // 000000006620: D2010050 0483CB21
	v_cmp_u_f32_e64 s[78:79], v86, v86                         // 000000006628: D048004E 0002AD56
	v_bfe_u32 v228, v86, 16, 1                                 // 000000006630: D1C800E4 02052156
	v_add3_u32 v228, v86, v228, v231                           // 000000006638: D1FF00E4 079FC956
	v_cndmask_b32_e64 v32, v228, v230, s[78:79]                // 000000006640: D1000020 013BCDE4
	v_lshrrev_b32_e32 v32, 16, v32                             // 000000006648: 20404090
	v_cmp_u_f32_e64 s[78:79], v87, v87                         // 00000000664C: D048004E 0002AF57
	v_bfe_u32 v228, v87, 16, 1                                 // 000000006654: D1C800E4 02052157
	v_add3_u32 v228, v87, v228, v231                           // 00000000665C: D1FF00E4 079FC957
	v_cndmask_b32_e64 v33, v228, v230, s[78:79]                // 000000006664: D1000021 013BCDE4
	v_and_or_b32 v81, v33, v229, v32                           // 00000000666C: D2010051 0483CB21
	v_mfma_f32_16x16x16_bf16 v[200:203], v[126:127], v[166:167], v[200:203]// 000000006674: D3E100C8 07234D7E
	v_mov_b32_dpp v18, v76 quad_perm:[1,0,3,2] row_mask:0xf bank_mask:0xf// 00000000667C: 7E2402FA FF00B14C
	v_perm_b32 v52, v18, v76, v17                              // 000000006684: D1ED0034 04469912
	v_mov_b32_dpp v18, v77 quad_perm:[1,0,3,2] row_mask:0xf bank_mask:0xf// 00000000668C: 7E2402FA FF00B14D
	v_perm_b32 v53, v18, v77, v17                              // 000000006694: D1ED0035 04469B12
	v_mov_b32_dpp v18, v78 quad_perm:[1,0,3,2] row_mask:0xf bank_mask:0xf// 00000000669C: 7E2402FA FF00B14E
	v_perm_b32 v54, v18, v78, v17                              // 0000000066A4: D1ED0036 04469D12
	v_mfma_f32_16x16x16_bf16 v[204:207], v[128:129], v[166:167], v[204:207]// 0000000066AC: D3E100CC 07334D80
	v_mov_b32_dpp v18, v79 quad_perm:[1,0,3,2] row_mask:0xf bank_mask:0xf// 0000000066B4: 7E2402FA FF00B14F
	v_perm_b32 v55, v18, v79, v17                              // 0000000066BC: D1ED0037 04469F12
	v_mov_b32_dpp v18, v80 quad_perm:[1,0,3,2] row_mask:0xf bank_mask:0xf// 0000000066C4: 7E2402FA FF00B150
	v_perm_b32 v56, v18, v80, v17                              // 0000000066CC: D1ED0038 0446A112
	v_mov_b32_dpp v18, v81 quad_perm:[1,0,3,2] row_mask:0xf bank_mask:0xf// 0000000066D4: 7E2402FA FF00B151
	v_perm_b32 v57, v18, v81, v17                              // 0000000066DC: D1ED0039 0446A312
	v_mfma_f32_16x16x16_bf16 v[208:211], v[130:131], v[166:167], v[208:211]// 0000000066E4: D3E100D0 07434D82
	ds_write_b32 v20, v52 offset:17408                         // 0000000066EC: D81A4400 00003414
	ds_write_b32 v20, v53 offset:17952                         // 0000000066F4: D81A4620 00003514
	v_mfma_f32_16x16x16_bf16 v[212:215], v[124:125], v[168:169], v[212:215]// 0000000066FC: D3E100D4 0753517C
	v_subrev_f32_dpp v88, v177, v88 quad_perm:[0,0,0,0] row_mask:0xf bank_mask:0xf// 000000006704: 06B0B0FA FF0000B1
	v_subrev_f32_dpp v89, v177, v89 quad_perm:[1,1,1,1] row_mask:0xf bank_mask:0xf// 00000000670C: 06B2B2FA FF0055B1
	v_subrev_f32_dpp v90, v177, v90 quad_perm:[2,2,2,2] row_mask:0xf bank_mask:0xf// 000000006714: 06B4B4FA FF00AAB1
	v_subrev_f32_dpp v91, v177, v91 quad_perm:[3,3,3,3] row_mask:0xf bank_mask:0xf// 00000000671C: 06B6B6FA FF00FFB1
	v_subrev_f32_dpp v92, v177, v92 quad_perm:[0,0,0,0] row_mask:0xf bank_mask:0xf// 000000006724: 06B8B8FA FF0000B1
	v_subrev_f32_dpp v93, v177, v93 quad_perm:[1,1,1,1] row_mask:0xf bank_mask:0xf// 00000000672C: 06BABAFA FF0055B1
	v_mfma_f32_16x16x16_bf16 v[216:219], v[126:127], v[168:169], v[216:219]// 000000006734: D3E100D8 0763517E
	ds_write_b32 v20, v54 offset:19712                         // 00000000673C: D81A4D00 00003614
	ds_write_b32 v20, v55 offset:20256                         // 000000006744: D81A4F20 00003714
	v_mfma_f32_16x16x16_bf16 v[220:223], v[128:129], v[168:169], v[220:223]// 00000000674C: D3E100DC 07735180
	v_subrev_f32_dpp v94, v177, v94 quad_perm:[2,2,2,2] row_mask:0xf bank_mask:0xf// 000000006754: 06BCBCFA FF00AAB1
	v_subrev_f32_dpp v95, v177, v95 quad_perm:[3,3,3,3] row_mask:0xf bank_mask:0xf// 00000000675C: 06BEBEFA FF00FFB1
	v_subrev_f32_dpp v96, v177, v96 quad_perm:[0,0,0,0] row_mask:0xf bank_mask:0xf// 000000006764: 06C0C0FA FF0000B1
	v_subrev_f32_dpp v97, v177, v97 quad_perm:[1,1,1,1] row_mask:0xf bank_mask:0xf// 00000000676C: 06C2C2FA FF0055B1
	v_subrev_f32_dpp v98, v177, v98 quad_perm:[2,2,2,2] row_mask:0xf bank_mask:0xf// 000000006774: 06C4C4FA FF00AAB1
	v_subrev_f32_dpp v99, v177, v99 quad_perm:[3,3,3,3] row_mask:0xf bank_mask:0xf// 00000000677C: 06C6C6FA FF00FFB1
	v_mfma_f32_16x16x16_bf16 v[224:227], v[130:131], v[168:169], v[224:227]// 000000006784: D3E100E0 07835182
	ds_write_b32 v20, v56 offset:22016                         // 00000000678C: D81A5600 00003814
	ds_write_b32 v20, v57 offset:22560                         // 000000006794: D81A5820 00003914
	v_mfma_f32_16x16x16_bf16 v[180:183], v[132:133], v[170:171], v[180:183]// 00000000679C: D3E100B4 06D35584
	v_mul_f32_e32 v88, v64, v88                                // 0000000067A4: 0AB0B140
	v_mul_f32_e32 v89, v65, v89                                // 0000000067A8: 0AB2B341
	v_mul_f32_e32 v90, v66, v90                                // 0000000067AC: 0AB4B542
	v_mul_f32_e32 v91, v67, v91                                // 0000000067B0: 0AB6B743
	v_mul_f32_e32 v92, v68, v92                                // 0000000067B4: 0AB8B944
	v_mul_f32_e32 v93, v69, v93                                // 0000000067B8: 0ABABB45
	v_mfma_f32_16x16x16_bf16 v[184:187], v[134:135], v[170:171], v[184:187]// 0000000067BC: D3E100B8 06E35586
	v_mul_f32_e32 v94, v70, v94                                // 0000000067C4: 0ABCBD46
	v_mul_f32_e32 v95, v71, v95                                // 0000000067C8: 0ABEBF47
	v_mul_f32_e32 v96, v72, v96                                // 0000000067CC: 0AC0C148
	v_mul_f32_e32 v97, v73, v97                                // 0000000067D0: 0AC2C349
	v_mul_f32_e32 v98, v74, v98                                // 0000000067D4: 0AC4C54A
	v_mul_f32_e32 v99, v75, v99                                // 0000000067D8: 0AC6C74B
	v_mfma_f32_16x16x16_bf16 v[188:191], v[136:137], v[170:171], v[188:191]// 0000000067DC: D3E100BC 06F35588
	v_cmp_u_f32_e64 s[78:79], v88, v88                         // 0000000067E4: D048004E 0002B158
	v_bfe_u32 v228, v88, 16, 1                                 // 0000000067EC: D1C800E4 02052158
	v_add3_u32 v228, v88, v228, v231                           // 0000000067F4: D1FF00E4 079FC958
	v_cndmask_b32_e64 v32, v228, v230, s[78:79]                // 0000000067FC: D1000020 013BCDE4
	v_lshrrev_b32_e32 v32, 16, v32                             // 000000006804: 20404090
	v_cmp_u_f32_e64 s[78:79], v89, v89                         // 000000006808: D048004E 0002B359
	v_bfe_u32 v228, v89, 16, 1                                 // 000000006810: D1C800E4 02052159
	v_add3_u32 v228, v89, v228, v231                           // 000000006818: D1FF00E4 079FC959
	v_cndmask_b32_e64 v33, v228, v230, s[78:79]                // 000000006820: D1000021 013BCDE4
	v_and_or_b32 v82, v33, v229, v32                           // 000000006828: D2010052 0483CB21
	v_cmp_u_f32_e64 s[78:79], v90, v90                         // 000000006830: D048004E 0002B55A
	v_bfe_u32 v228, v90, 16, 1                                 // 000000006838: D1C800E4 0205215A
	v_add3_u32 v228, v90, v228, v231                           // 000000006840: D1FF00E4 079FC95A
	v_cndmask_b32_e64 v32, v228, v230, s[78:79]                // 000000006848: D1000020 013BCDE4
	v_lshrrev_b32_e32 v32, 16, v32                             // 000000006850: 20404090
	v_cmp_u_f32_e64 s[78:79], v91, v91                         // 000000006854: D048004E 0002B75B
	v_bfe_u32 v228, v91, 16, 1                                 // 00000000685C: D1C800E4 0205215B
	v_add3_u32 v228, v91, v228, v231                           // 000000006864: D1FF00E4 079FC95B
	v_cndmask_b32_e64 v33, v228, v230, s[78:79]                // 00000000686C: D1000021 013BCDE4
	v_and_or_b32 v83, v33, v229, v32                           // 000000006874: D2010053 0483CB21
	v_cmp_u_f32_e64 s[78:79], v92, v92                         // 00000000687C: D048004E 0002B95C
	v_bfe_u32 v228, v92, 16, 1                                 // 000000006884: D1C800E4 0205215C
	v_add3_u32 v228, v92, v228, v231                           // 00000000688C: D1FF00E4 079FC95C
	v_cndmask_b32_e64 v32, v228, v230, s[78:79]                // 000000006894: D1000020 013BCDE4
	v_lshrrev_b32_e32 v32, 16, v32                             // 00000000689C: 20404090
	v_cmp_u_f32_e64 s[78:79], v93, v93                         // 0000000068A0: D048004E 0002BB5D
	v_bfe_u32 v228, v93, 16, 1                                 // 0000000068A8: D1C800E4 0205215D
	v_add3_u32 v228, v93, v228, v231                           // 0000000068B0: D1FF00E4 079FC95D
	v_cndmask_b32_e64 v33, v228, v230, s[78:79]                // 0000000068B8: D1000021 013BCDE4
	v_and_or_b32 v84, v33, v229, v32                           // 0000000068C0: D2010054 0483CB21
	v_cmp_u_f32_e64 s[78:79], v94, v94                         // 0000000068C8: D048004E 0002BD5E
	v_bfe_u32 v228, v94, 16, 1                                 // 0000000068D0: D1C800E4 0205215E
	v_add3_u32 v228, v94, v228, v231                           // 0000000068D8: D1FF00E4 079FC95E
	v_cndmask_b32_e64 v32, v228, v230, s[78:79]                // 0000000068E0: D1000020 013BCDE4
	v_lshrrev_b32_e32 v32, 16, v32                             // 0000000068E8: 20404090
	v_cmp_u_f32_e64 s[78:79], v95, v95                         // 0000000068EC: D048004E 0002BF5F
	v_bfe_u32 v228, v95, 16, 1                                 // 0000000068F4: D1C800E4 0205215F
	v_add3_u32 v228, v95, v228, v231                           // 0000000068FC: D1FF00E4 079FC95F
	v_cndmask_b32_e64 v33, v228, v230, s[78:79]                // 000000006904: D1000021 013BCDE4
	v_and_or_b32 v85, v33, v229, v32                           // 00000000690C: D2010055 0483CB21
	v_cmp_u_f32_e64 s[78:79], v96, v96                         // 000000006914: D048004E 0002C160
	v_bfe_u32 v228, v96, 16, 1                                 // 00000000691C: D1C800E4 02052160
	v_add3_u32 v228, v96, v228, v231                           // 000000006924: D1FF00E4 079FC960
	v_cndmask_b32_e64 v32, v228, v230, s[78:79]                // 00000000692C: D1000020 013BCDE4
	v_lshrrev_b32_e32 v32, 16, v32                             // 000000006934: 20404090
	v_cmp_u_f32_e64 s[78:79], v97, v97                         // 000000006938: D048004E 0002C361
	v_bfe_u32 v228, v97, 16, 1                                 // 000000006940: D1C800E4 02052161
	v_add3_u32 v228, v97, v228, v231                           // 000000006948: D1FF00E4 079FC961
	v_cndmask_b32_e64 v33, v228, v230, s[78:79]                // 000000006950: D1000021 013BCDE4
	v_and_or_b32 v86, v33, v229, v32                           // 000000006958: D2010056 0483CB21
	v_cmp_u_f32_e64 s[78:79], v98, v98                         // 000000006960: D048004E 0002C562
	v_bfe_u32 v228, v98, 16, 1                                 // 000000006968: D1C800E4 02052162
	v_add3_u32 v228, v98, v228, v231                           // 000000006970: D1FF00E4 079FC962
	v_cndmask_b32_e64 v32, v228, v230, s[78:79]                // 000000006978: D1000020 013BCDE4
	v_lshrrev_b32_e32 v32, 16, v32                             // 000000006980: 20404090
	v_cmp_u_f32_e64 s[78:79], v99, v99                         // 000000006984: D048004E 0002C763
	v_bfe_u32 v228, v99, 16, 1                                 // 00000000698C: D1C800E4 02052163
	v_add3_u32 v228, v99, v228, v231                           // 000000006994: D1FF00E4 079FC963
	v_cndmask_b32_e64 v33, v228, v230, s[78:79]                // 00000000699C: D1000021 013BCDE4
	v_and_or_b32 v87, v33, v229, v32                           // 0000000069A4: D2010057 0483CB21
	v_mfma_f32_16x16x16_bf16 v[192:195], v[138:139], v[170:171], v[192:195]// 0000000069AC: D3E100C0 0703558A
	v_mov_b32_dpp v18, v82 quad_perm:[1,0,3,2] row_mask:0xf bank_mask:0xf// 0000000069B4: 7E2402FA FF00B152
	v_perm_b32 v58, v18, v82, v17                              // 0000000069BC: D1ED003A 0446A512
	v_mov_b32_dpp v18, v83 quad_perm:[1,0,3,2] row_mask:0xf bank_mask:0xf// 0000000069C4: 7E2402FA FF00B153
	v_perm_b32 v59, v18, v83, v17                              // 0000000069CC: D1ED003B 0446A712
	v_mov_b32_dpp v18, v84 quad_perm:[1,0,3,2] row_mask:0xf bank_mask:0xf// 0000000069D4: 7E2402FA FF00B154
	v_perm_b32 v60, v18, v84, v17                              // 0000000069DC: D1ED003C 0446A912
	v_mfma_f32_16x16x16_bf16 v[196:199], v[132:133], v[172:173], v[196:199]// 0000000069E4: D3E100C4 07135984
	v_mov_b32_dpp v18, v85 quad_perm:[1,0,3,2] row_mask:0xf bank_mask:0xf// 0000000069EC: 7E2402FA FF00B155
	v_perm_b32 v61, v18, v85, v17                              // 0000000069F4: D1ED003D 0446AB12
	v_mov_b32_dpp v18, v86 quad_perm:[1,0,3,2] row_mask:0xf bank_mask:0xf// 0000000069FC: 7E2402FA FF00B156
	v_perm_b32 v62, v18, v86, v17                              // 000000006A04: D1ED003E 0446AD12
	v_mov_b32_dpp v18, v87 quad_perm:[1,0,3,2] row_mask:0xf bank_mask:0xf// 000000006A0C: 7E2402FA FF00B157
	v_perm_b32 v63, v18, v87, v17                              // 000000006A14: D1ED003F 0446AF12
	v_mfma_f32_16x16x16_bf16 v[200:203], v[134:135], v[172:173], v[200:203]// 000000006A1C: D3E100C8 07235986
	ds_write_b32 v20, v58 offset:24320                         // 000000006A24: D81A5F00 00003A14
	ds_write_b32 v20, v59 offset:24864                         // 000000006A2C: D81A6120 00003B14
	v_mfma_f32_16x16x16_bf16 v[204:207], v[136:137], v[172:173], v[204:207]// 000000006A34: D3E100CC 07335988
	v_mfma_f32_16x16x16_bf16 v[208:211], v[138:139], v[172:173], v[208:211]// 000000006A3C: D3E100D0 0743598A
	ds_write_b32 v20, v60 offset:26624                         // 000000006A44: D81A6800 00003C14
	ds_write_b32 v20, v61 offset:27168                         // 000000006A4C: D81A6A20 00003D14
	ds_write_b32 v20, v62 offset:28928                         // 000000006A54: D81A7100 00003E14
	ds_write_b32 v20, v63 offset:29472                         // 000000006A5C: D81A7320 00003F14
	v_mfma_f32_16x16x16_bf16 v[212:215], v[132:133], v[174:175], v[212:215]// 000000006A64: D3E100D4 07535D84
	v_mfma_f32_16x16x16_bf16 v[216:219], v[134:135], v[174:175], v[216:219]// 000000006A6C: D3E100D8 07635D86
	ds_write_b32 v15, v100 offset:4352                         // 000000006A74: D81A1100 0000640F
	ds_write_b32 v15, v101 offset:5408                         // 000000006A7C: D81A1520 0000650F
	v_mfma_f32_16x16x16_bf16 v[220:223], v[136:137], v[174:175], v[220:223]// 000000006A84: D3E100DC 07735D88
	s_nop 0                                                    // 000000006A8C: BF800000
	s_nop 0                                                    // 000000006A90: BF800000
	s_nop 0                                                    // 000000006A94: BF800000
	v_mfma_f32_16x16x16_bf16 v[224:227], v[138:139], v[174:175], v[224:227]// 000000006A98: D3E100E0 07835D8A
	ds_write_b32 v15, v102 offset:6528                         // 000000006AA0: D81A1980 0000660F
	ds_write_b32 v15, v103 offset:7584                         // 000000006AA8: D81A1DA0 0000670F
	s_barrier                                                  // 000000006AB0: BF8A0000
	v_mfma_f32_16x16x16_bf16 a[112:115], a[96:97], v[76:77], a[112:115]// 000000006AB4: D3E18070 0DC29960
	buffer_atomic_add_f32 v156, v6, s[32:35], 0 idxen          // 000000006ABC: E1342000 80089C06
	v_mfma_f32_16x16x16_bf16 a[116:119], a[98:99], v[76:77], a[116:119]// 000000006AC4: D3E18074 0DD29962
	ds_read_b32 v140, v23 offset:39936                         // 000000006ACC: D86C9C00 8C000017
	ds_read_b32 v144, v23 offset:40000                         // 000000006AD4: D86C9C40 90000017
	ds_read_b32 v176, v23 offset:40192                         // 000000006ADC: D86C9D00 B0000017
	ds_read_b32 v177, v23 offset:40256                         // 000000006AE4: D86C9D40 B1000017
	v_mfma_f32_16x16x16_bf16 a[120:123], a[100:101], v[76:77], a[120:123]// 000000006AEC: D3E18078 0DE29964
	s_waitcnt lgkmcnt(8)                                       // 000000006AF4: BF8CC87F
	s_barrier                                                  // 000000006AF8: BF8A0000
	v_mfma_f32_16x16x16_bf16 a[124:127], a[102:103], v[76:77], a[124:127]// 000000006AFC: D3E1807C 0DF29966
	ds_read_b128 v[52:55], v19 offset:17408                    // 000000006B04: D9FE4400 34000013
	v_mfma_f32_16x16x16_bf16 a[128:131], a[96:97], v[78:79], a[128:131]// 000000006B0C: D3E18080 0E029D60
	v_mfma_f32_16x16x16_bf16 a[132:135], a[98:99], v[78:79], a[132:135]// 000000006B14: D3E18084 0E129D62
	ds_read_b128 v[56:59], v19 offset:18560                    // 000000006B1C: D9FE4880 38000013
	v_mfma_f32_16x16x16_bf16 a[136:139], a[100:101], v[78:79], a[136:139]// 000000006B24: D3E18088 0E229D64
	buffer_atomic_add_f32 v157, v7, s[32:35], 0 idxen          // 000000006B2C: E1342000 80089D07
	v_mfma_f32_16x16x16_bf16 a[140:143], a[102:103], v[78:79], a[140:143]// 000000006B34: D3E1808C 0E329D66
	ds_read_b128 v[60:63], v19 offset:19712                    // 000000006B3C: D9FE4D00 3C000013
	v_mfma_f32_16x16x16_bf16 a[144:147], a[96:97], v[80:81], a[144:147]// 000000006B44: D3E18090 0E42A160
	v_mfma_f32_16x16x16_bf16 a[148:151], a[98:99], v[80:81], a[148:151]// 000000006B4C: D3E18094 0E52A162
	ds_read_b128 v[64:67], v19 offset:20864                    // 000000006B54: D9FE5180 40000013
	v_mfma_f32_16x16x16_bf16 a[152:155], a[100:101], v[80:81], a[152:155]// 000000006B5C: D3E18098 0E62A164
	v_mfma_f32_16x16x16_bf16 a[156:159], a[102:103], v[80:81], a[156:159]// 000000006B64: D3E1809C 0E72A166
	ds_read_b128 v[68:71], v19 offset:22016                    // 000000006B6C: D9FE5600 44000013
	v_mfma_f32_16x16x16_bf16 a[112:115], a[104:105], v[82:83], a[112:115]// 000000006B74: D3E18070 0DC2A568
	buffer_atomic_add_f32 v158, v6, s[32:35], 0 idxen offset:128// 000000006B7C: E1342080 80089E06
	v_mfma_f32_16x16x16_bf16 a[116:119], a[106:107], v[82:83], a[116:119]// 000000006B84: D3E18074 0DD2A56A
	ds_read_b128 v[72:75], v19 offset:23168                    // 000000006B8C: D9FE5A80 48000013
	v_mfma_f32_16x16x16_bf16 a[120:123], a[108:109], v[82:83], a[120:123]// 000000006B94: D3E18078 0DE2A56C
	v_mfma_f32_16x16x16_bf16 a[124:127], a[110:111], v[82:83], a[124:127]// 000000006B9C: D3E1807C 0DF2A56E
	ds_write_b32 v15, v104 offset:13056                        // 000000006BA4: D81A3300 0000680F
	v_mfma_f32_16x16x16_bf16 a[128:131], a[104:105], v[84:85], a[128:131]// 000000006BAC: D3E18080 0E02A968
	v_mfma_f32_16x16x16_bf16 a[132:135], a[106:107], v[84:85], a[132:135]// 000000006BB4: D3E18084 0E12A96A
	ds_write_b32 v15, v105 offset:14112                        // 000000006BBC: D81A3720 0000690F
	v_mfma_f32_16x16x16_bf16 a[136:139], a[108:109], v[84:85], a[136:139]// 000000006BC4: D3E18088 0E22A96C
	buffer_atomic_add_f32 v159, v7, s[32:35], 0 idxen offset:128// 000000006BCC: E1342080 80089F07
	v_mfma_f32_16x16x16_bf16 a[140:143], a[110:111], v[84:85], a[140:143]// 000000006BD4: D3E1808C 0E32A96E
	ds_write_b32 v15, v106 offset:15232                        // 000000006BDC: D81A3B80 00006A0F
	v_mfma_f32_16x16x16_bf16 a[144:147], a[104:105], v[86:87], a[144:147]// 000000006BE4: D3E18090 0E42AD68
	v_mfma_f32_16x16x16_bf16 a[148:151], a[106:107], v[86:87], a[148:151]// 000000006BEC: D3E18094 0E52AD6A
	ds_write_b32 v15, v107 offset:16288                        // 000000006BF4: D81A3FA0 00006B0F
	v_mfma_f32_16x16x16_bf16 a[152:155], a[108:109], v[86:87], a[152:155]// 000000006BFC: D3E18098 0E62AD6C
	v_mfma_f32_16x16x16_bf16 a[156:159], a[110:111], v[86:87], a[156:159]// 000000006C04: D3E1809C 0E72AD6E
	s_waitcnt vmcnt(8) lgkmcnt(4)                              // 000000006C0C: BF8C0478
	s_barrier                                                  // 000000006C10: BF8A0000
	v_mfma_f32_16x16x16_bf16 v[148:151], v[52:53], a[24:25], 0 // 000000006C14: D3E10094 12023134
	v_mul_f32_e32 v140, s48, v140                              // 000000006C1C: 0B191830
	v_mul_f32_e32 v144, s48, v144                              // 000000006C20: 0B212030
	s_nop 0                                                    // 000000006C24: BF800000
	v_mfma_f32_16x16x16_bf16 v[148:151], v[54:55], a[28:29], v[148:151]// 000000006C28: D3E10094 16523936
	ds_read_b128 a[96:99], v12                                 // 000000006C30: DBFE0000 6000000C
	buffer_load_dword v40, v1, s[8:11], 0 idxen                // 000000006C38: E0502000 80022801
	v_mfma_f32_16x16x16_bf16 v[148:151], v[56:57], a[32:33], v[148:151]// 000000006C40: D3E10094 16524138
	v_mfma_f32_16x16x16_bf16 v[148:151], v[58:59], a[36:37], v[148:151]// 000000006C48: D3E10094 1652493A
	ds_read_b128 a[100:103], v12 offset:512                    // 000000006C50: DBFE0200 6400000C
	buffer_load_dword v41, v2, s[8:11], 0 idxen                // 000000006C58: E0502000 80022902
	v_mfma_f32_16x16x16_bf16 v[148:151], v[60:61], a[40:41], v[148:151]// 000000006C60: D3E10094 1652513C
	v_perm_b32 v100, v37, v36, s63                             // 000000006C68: D1ED0064 00FE4925
	v_perm_b32 v101, v37, v36, s64                             // 000000006C70: D1ED0065 01024925
	v_mfma_f32_16x16x16_bf16 v[148:151], v[62:63], a[44:45], v[148:151]// 000000006C78: D3E10094 1652593E
	ds_read_b128 a[104:107], v12 offset:2176                   // 000000006C80: DBFE0880 6800000C
	buffer_load_dword v42, v3, s[8:11], 0 idxen                // 000000006C88: E0502000 80022A03
	v_mfma_f32_16x16x16_bf16 v[148:151], v[64:65], a[48:49], v[148:151]// 000000006C90: D3E10094 16526140
	v_perm_b32 v102, v39, v38, s63                             // 000000006C98: D1ED0066 00FE4D27
	v_perm_b32 v103, v39, v38, s64                             // 000000006CA0: D1ED0067 01024D27
	v_mfma_f32_16x16x16_bf16 v[148:151], v[66:67], a[52:53], v[148:151]// 000000006CA8: D3E10094 16526942
	ds_read_b128 a[108:111], v12 offset:2688                   // 000000006CB0: DBFE0A80 6C00000C
	buffer_load_dword v43, v4, s[8:11], 0 idxen                // 000000006CB8: E0502000 80022B04
	v_mfma_f32_16x16x16_bf16 v[148:151], v[68:69], a[56:57], v[148:151]// 000000006CC0: D3E10094 16527144
	v_perm_b32 v104, v45, v44, s63                             // 000000006CC8: D1ED0068 00FE592D
	v_perm_b32 v105, v45, v44, s64                             // 000000006CD0: D1ED0069 0102592D
	v_mfma_f32_16x16x16_bf16 v[148:151], v[70:71], a[60:61], v[148:151]// 000000006CD8: D3E10094 16527946
	ds_read_b128 v[108:111], v12 offset:8704                   // 000000006CE0: D9FE2200 6C00000C
	buffer_load_dword v48, v232, s[20:23], 0 idxen             // 000000006CE8: E0502000 800530E8
	v_mfma_f32_16x16x16_bf16 v[148:151], v[72:73], a[64:65], v[148:151]// 000000006CF0: D3E10094 16528148
	v_perm_b32 v106, v47, v46, s63                             // 000000006CF8: D1ED006A 00FE5D2F
	v_perm_b32 v107, v47, v46, s64                             // 000000006D00: D1ED006B 01025D2F
	v_mfma_f32_16x16x16_bf16 v[148:151], v[74:75], a[68:69], v[148:151]// 000000006D08: D3E10094 1652894A
	ds_read_b128 v[112:115], v12 offset:9216                   // 000000006D10: D9FE2400 7000000C
	buffer_load_dword v49, v233, s[20:23], 0 idxen             // 000000006D18: E0502000 800531E9
	v_mfma_f32_16x16x16_bf16 v[152:155], v[52:53], a[26:27], 0 // 000000006D20: D3E10098 12023534
	v_mov_b32_dpp v143, v140 quad_perm:[3,3,3,3] row_mask:0xf bank_mask:0xf// 000000006D28: 7F1E02FA FF00FF8C
	v_mov_b32_dpp v142, v140 quad_perm:[2,2,2,2] row_mask:0xf bank_mask:0xf// 000000006D30: 7F1C02FA FF00AA8C
	v_mov_b32_dpp v141, v140 quad_perm:[1,1,1,1] row_mask:0xf bank_mask:0xf// 000000006D38: 7F1A02FA FF00558C
	v_mov_b32_dpp v140, v140 quad_perm:[0,0,0,0] row_mask:0xf bank_mask:0xf// 000000006D40: 7F1802FA FF00008C
	v_mfma_f32_16x16x16_bf16 v[152:155], v[54:55], a[30:31], v[152:155]// 000000006D48: D3E10098 16623D36
	ds_read_b128 v[116:119], v12 offset:10880                  // 000000006D50: D9FE2A80 7400000C
	buffer_load_dword v50, v234, s[20:23], 0 idxen             // 000000006D58: E0502000 800532EA
	v_mfma_f32_16x16x16_bf16 v[152:155], v[56:57], a[34:35], v[152:155]// 000000006D60: D3E10098 16624538
	v_mov_b32_dpp v147, v144 quad_perm:[3,3,3,3] row_mask:0xf bank_mask:0xf// 000000006D68: 7F2602FA FF00FF90
	v_mov_b32_dpp v146, v144 quad_perm:[2,2,2,2] row_mask:0xf bank_mask:0xf// 000000006D70: 7F2402FA FF00AA90
	v_mov_b32_dpp v145, v144 quad_perm:[1,1,1,1] row_mask:0xf bank_mask:0xf// 000000006D78: 7F2202FA FF005590
	v_mov_b32_dpp v144, v144 quad_perm:[0,0,0,0] row_mask:0xf bank_mask:0xf// 000000006D80: 7F2002FA FF000090
	s_add_u32 s60, 0x80, s59                                   // 000000006D88: 803C3BFF 00000080
	v_mfma_f32_16x16x16_bf16 v[152:155], v[58:59], a[38:39], v[152:155]// 000000006D90: D3E10098 16624D3A
	ds_read_b128 v[120:123], v12 offset:11392                  // 000000006D98: D9FE2C80 7800000C
	buffer_load_dword v51, v235, s[20:23], 0 idxen             // 000000006DA0: E0502000 800533EB
	v_mfma_f32_16x16x16_bf16 v[152:155], v[60:61], a[42:43], v[152:155]// 000000006DA8: D3E10098 1662553C
	s_cmp_lt_u32 s60, s58                                      // 000000006DB0: BF0A3A3C
	s_cselect_b32 s68, s68, 0                                  // 000000006DB4: 85448044
	s_cselect_b32 s99, s99, 0                                  // 000000006DB8: 85638063
	s_cselect_b32 s69, s69, 0                                  // 000000006DBC: 85458045
	v_mfma_f32_16x16x16_bf16 v[152:155], v[62:63], a[46:47], v[152:155]// 000000006DC0: D3E10098 16625D3E
	buffer_load_dword v11, s[24:27], 0 idxen lds               // 000000006DC8: E0512000 8006000B
	v_mfma_f32_16x16x16_bf16 v[152:155], v[64:65], a[50:51], v[152:155]// 000000006DD0: D3E10098 16626540
	v_add_u32_e32 v1, s68, v1                                  // 000000006DD8: 68020244
	v_add_u32_e32 v2, s68, v2                                  // 000000006DDC: 68040444
	v_add_u32_e32 v3, s68, v3                                  // 000000006DE0: 68060644
	v_add_u32_e32 v4, s68, v4                                  // 000000006DE4: 68080844
	v_mfma_f32_16x16x16_bf16 v[152:155], v[66:67], a[54:55], v[152:155]// 000000006DE8: D3E10098 16626D42
	v_add_u32_e32 v232, s99, v232                              // 000000006DF0: 69D1D063
	v_add_u32_e32 v233, s99, v233                              // 000000006DF4: 69D3D263
	v_add_u32_e32 v234, s99, v234                              // 000000006DF8: 69D5D463
	v_add_u32_e32 v235, s99, v235                              // 000000006DFC: 69D7D663
	v_mfma_f32_16x16x16_bf16 v[152:155], v[68:69], a[58:59], v[152:155]// 000000006E00: D3E10098 16627544
	s_mov_b32 m0, s80                                          // 000000006E08: BEFC0050
	v_add_u32_e32 v11, s69, v11                                // 000000006E0C: 68161645
	v_mfma_f32_16x16x16_bf16 v[152:155], v[70:71], a[62:63], v[152:155]// 000000006E10: D3E10098 16627D46
	s_cmp_ge_u32 s59, s73                                      // 000000006E18: BF09493B
	s_cselect_b32 s66, s67, s66                                // 000000006E1C: 85424243
	v_mfma_f32_16x16x16_bf16 v[152:155], v[72:73], a[66:67], v[152:155]// 000000006E20: D3E10098 16628548
	s_addk_i32 s59, 0x20                                       // 000000006E28: B73B0020
	s_nop 0                                                    // 000000006E2C: BF800000
	s_cmp_lt_i32 s59, s58                                      // 000000006E30: BF043A3B
	v_mfma_f32_16x16x16_bf16 v[152:155], v[74:75], a[70:71], v[152:155]// 000000006E34: D3E10098 16628D4A
	s_cbranch_scc0 label_11E5                                  // 000000006E3C: BF8405C3
	s_waitcnt lgkmcnt(0)                                       // 000000006E40: BF8CC07F
	s_barrier                                                  // 000000006E44: BF8A0000
	v_mfma_f32_16x16x16_bf16 v[52:55], a[96:97], a[0:1], 0     // 000000006E48: D3E10034 1A020160
	ds_write_b32 v13, v44 offset:8704                          // 000000006E50: D81A2200 00002C0D
	ds_write_b32 v13, v45 offset:9760                          // 000000006E58: D81A2620 00002D0D
	v_mfma_f32_16x16x16_bf16 v[52:55], a[98:99], a[2:3], v[52:55]// 000000006E60: D3E10034 1CD20562
	v_mul_f32_e32 v148, s47, v148                              // 000000006E68: 0B29282F
	v_mul_f32_e32 v149, s47, v149                              // 000000006E6C: 0B2B2A2F
	v_mfma_f32_16x16x16_bf16 v[52:55], a[100:101], a[4:5], v[52:55]// 000000006E70: D3E10034 1CD20964
	ds_write_b32 v13, v46 offset:10880                         // 000000006E78: D81A2A80 00002E0D
	ds_write_b32 v13, v47 offset:11936                         // 000000006E80: D81A2EA0 00002F0D
	v_mfma_f32_16x16x16_bf16 v[52:55], a[102:103], a[6:7], v[52:55]// 000000006E88: D3E10034 1CD20D66
	v_mul_f32_e32 v150, s47, v150                              // 000000006E90: 0B2D2C2F
	v_mul_f32_e32 v151, s47, v151                              // 000000006E94: 0B2F2E2F
	v_mfma_f32_16x16x16_bf16 v[56:59], a[96:97], a[8:9], 0     // 000000006E98: D3E10038 1A021160
	ds_write_b64 v22, v[148:149] offset:31232                  // 000000006EA0: D89A7A00 00009416
	v_mfma_f32_16x16x16_bf16 v[56:59], a[98:99], a[10:11], v[56:59]// 000000006EA8: D3E10038 1CE21562
	v_mul_f32_e32 v152, s47, v152                              // 000000006EB0: 0B31302F
	v_mul_f32_e32 v153, s47, v153                              // 000000006EB4: 0B33322F
	v_mfma_f32_16x16x16_bf16 v[56:59], a[100:101], a[12:13], v[56:59]// 000000006EB8: D3E10038 1CE21964
	ds_write_b64 v22, v[150:151] offset:31744                  // 000000006EC0: D89A7C00 00009616
	v_mfma_f32_16x16x16_bf16 v[56:59], a[102:103], a[14:15], v[56:59]// 000000006EC8: D3E10038 1CE21D66
	v_mul_f32_e32 v154, s47, v154                              // 000000006ED0: 0B35342F
	v_mul_f32_e32 v155, s47, v155                              // 000000006ED4: 0B37362F
	v_mfma_f32_16x16x16_bf16 v[60:63], a[96:97], a[16:17], 0   // 000000006ED8: D3E1003C 1A022160
	ds_write_b64 v22, v[152:153] offset:32256                  // 000000006EE0: D89A7E00 00009816
	v_mfma_f32_16x16x16_bf16 v[60:63], a[98:99], a[18:19], v[60:63]// 000000006EE8: D3E1003C 1CF22562
	buffer_atomic_add_f32 v160, v8, s[32:35], 0 idxen          // 000000006EF0: E1342000 8008A008
	v_mfma_f32_16x16x16_bf16 v[60:63], a[100:101], a[20:21], v[60:63]// 000000006EF8: D3E1003C 1CF22964
	ds_write_b64 v22, v[154:155] offset:32768                  // 000000006F00: D89A8000 00009A16
	v_mfma_f32_16x16x16_bf16 v[60:63], a[102:103], a[22:23], v[60:63]// 000000006F08: D3E1003C 1CF22D66
	v_mfma_f32_16x16x16_bf16 v[64:67], a[104:105], a[0:1], 0   // 000000006F10: D3E10040 1A020168
	ds_read_b128 v[124:127], v14 offset:13056                  // 000000006F18: D9FE3300 7C00000E
	ds_write_b32 v13, v36                                      // 000000006F20: D81A0000 0000240D
	v_mfma_f32_16x16x16_bf16 v[64:67], a[106:107], a[2:3], v[64:67]// 000000006F28: D3E10040 1D02056A
	buffer_atomic_add_f32 v161, v9, s[32:35], 0 idxen          // 000000006F30: E1342000 8008A109
	v_mfma_f32_16x16x16_bf16 v[64:67], a[108:109], a[4:5], v[64:67]// 000000006F38: D3E10040 1D02096C
	v_mfma_f32_16x16x16_bf16 v[64:67], a[110:111], a[6:7], v[64:67]// 000000006F40: D3E10040 1D020D6E
	ds_read_b128 v[128:131], v14 offset:13568                  // 000000006F48: D9FE3500 8000000E
	ds_write_b32 v13, v37 offset:1056                          // 000000006F50: D81A0420 0000250D
	v_mfma_f32_16x16x16_bf16 v[68:71], a[104:105], a[8:9], 0   // 000000006F58: D3E10044 1A021168
	buffer_atomic_add_f32 v162, v8, s[32:35], 0 idxen offset:128// 000000006F60: E1342080 8008A208
	v_mfma_f32_16x16x16_bf16 v[68:71], a[106:107], a[10:11], v[68:71]// 000000006F68: D3E10044 1D12156A
	v_mfma_f32_16x16x16_bf16 v[68:71], a[108:109], a[12:13], v[68:71]// 000000006F70: D3E10044 1D12196C
	ds_read_b128 v[132:135], v14 offset:15232                  // 000000006F78: D9FE3B80 8400000E
	ds_write_b32 v13, v38 offset:2176                          // 000000006F80: D81A0880 0000260D
	v_mfma_f32_16x16x16_bf16 v[68:71], a[110:111], a[14:15], v[68:71]// 000000006F88: D3E10044 1D121D6E
	v_mfma_f32_16x16x16_bf16 v[72:75], a[104:105], a[16:17], 0 // 000000006F90: D3E10048 1A022168
	buffer_atomic_add_f32 v163, v9, s[32:35], 0 idxen offset:128// 000000006F98: E1342080 8008A309
	v_mfma_f32_16x16x16_bf16 v[72:75], a[106:107], a[18:19], v[72:75]// 000000006FA0: D3E10048 1D22256A
	ds_read_b128 v[136:139], v14 offset:15744                  // 000000006FA8: D9FE3D80 8800000E
	ds_write_b32 v13, v39 offset:3232                          // 000000006FB0: D81A0CA0 0000270D
	v_mfma_f32_16x16x16_bf16 v[72:75], a[108:109], a[20:21], v[72:75]// 000000006FB8: D3E10048 1D22296C
	v_mfma_f32_16x16x16_bf16 v[72:75], a[110:111], a[22:23], v[72:75]// 000000006FC0: D3E10048 1D222D6E
	s_cmp_lt_i32 s74, 12                                       // 000000006FC8: BF048C4A
	s_cbranch_scc0 label_0D63                                  // 000000006FCC: BF8400E6
	s_mov_b32 s60, 0xffe0fffe                                  // 000000006FD0: BEBC00FF FFE0FFFE
	s_mov_b32 s61, 0xe000fe00                                  // 000000006FD8: BEBD00FF E000FE00
	s_nop 0                                                    // 000000006FE0: BF800000
	s_add_u32 s62, 0, s46                                      // 000000006FE4: 803E2E80
	s_cmp_lt_i32 s74, s62                                      // 000000006FE8: BF043E4A
	s_cbranch_scc1 label_0CAD                                  // 000000006FEC: BF850028
	s_cmp_eq_i32 s74, s62                                      // 000000006FF0: BF003E4A
	s_cbranch_scc1 label_0C92                                  // 000000006FF4: BF85000B
	s_add_u32 s62, 4, s46                                      // 000000006FF8: 803E2E84
	s_cmp_lt_i32 s74, s62                                      // 000000006FFC: BF043E4A
	s_cbranch_scc1 label_0CCD                                  // 000000007000: BF850043
	s_cmp_eq_i32 s74, s62                                      // 000000007004: BF003E4A
	s_cbranch_scc1 label_0CB2                                  // 000000007008: BF850026
	s_add_u32 s62, 8, s46                                      // 00000000700C: 803E2E88
	s_cmp_lt_i32 s74, s62                                      // 000000007010: BF043E4A
	s_cbranch_scc1 label_0CED                                  // 000000007014: BF85005E
	s_cmp_eq_i32 s74, s62                                      // 000000007018: BF003E4A
	s_cbranch_scc1 label_0CD2                                  // 00000000701C: BF850041
	s_branch label_0CF2                                        // 000000007020: BF820060

0000000000007024 <label_0C92>:
	v_cndmask_b32_e64 v52, v52, v178, s[60:61]                 // 000000007024: D1000034 00F36534
	s_lshl_b32 s60, s60, 1                                     // 00000000702C: 8E3C813C
	s_lshl_b32 s61, s61, 1                                     // 000000007030: 8E3D813D
	s_and_b32 s60, 0xfffeffff, s60                             // 000000007034: 863C3CFF FFFEFFFF
	s_and_b32 s61, 0xfffeffff, s61                             // 00000000703C: 863D3DFF FFFEFFFF
	v_cndmask_b32_e64 v53, v53, v178, s[60:61]                 // 000000007044: D1000035 00F36535
	s_lshl_b32 s60, s60, 1                                     // 00000000704C: 8E3C813C
	s_lshl_b32 s61, s61, 1                                     // 000000007050: 8E3D813D
	s_and_b32 s60, 0xfffeffff, s60                             // 000000007054: 863C3CFF FFFEFFFF
	s_and_b32 s61, 0xfffeffff, s61                             // 00000000705C: 863D3DFF FFFEFFFF
	v_cndmask_b32_e64 v54, v54, v178, s[60:61]                 // 000000007064: D1000036 00F36536
	s_lshl_b32 s60, s60, 1                                     // 00000000706C: 8E3C813C
	s_lshl_b32 s61, s61, 1                                     // 000000007070: 8E3D813D
	s_and_b32 s60, 0xfffeffff, s60                             // 000000007074: 863C3CFF FFFEFFFF
	s_and_b32 s61, 0xfffeffff, s61                             // 00000000707C: 863D3DFF FFFEFFFF
	v_cndmask_b32_e64 v55, v55, v178, s[60:61]                 // 000000007084: D1000037 00F36537
	s_branch label_0CCD                                        // 00000000708C: BF820020

0000000000007090 <label_0CAD>:
	v_mov_b32_e32 v52, v178                                    // 000000007090: 7E6803B2
	v_mov_b32_e32 v53, v178                                    // 000000007094: 7E6A03B2
	v_mov_b32_e32 v54, v178                                    // 000000007098: 7E6C03B2
	v_mov_b32_e32 v55, v178                                    // 00000000709C: 7E6E03B2
	s_branch label_0CCD                                        // 0000000070A0: BF82001B

00000000000070a4 <label_0CB2>:
	v_cndmask_b32_e64 v56, v56, v178, s[60:61]                 // 0000000070A4: D1000038 00F36538
	s_lshl_b32 s60, s60, 1                                     // 0000000070AC: 8E3C813C
	s_lshl_b32 s61, s61, 1                                     // 0000000070B0: 8E3D813D
	s_and_b32 s60, 0xfffeffff, s60                             // 0000000070B4: 863C3CFF FFFEFFFF
	s_and_b32 s61, 0xfffeffff, s61                             // 0000000070BC: 863D3DFF FFFEFFFF
	v_cndmask_b32_e64 v57, v57, v178, s[60:61]                 // 0000000070C4: D1000039 00F36539
	s_lshl_b32 s60, s60, 1                                     // 0000000070CC: 8E3C813C
	s_lshl_b32 s61, s61, 1                                     // 0000000070D0: 8E3D813D
	s_and_b32 s60, 0xfffeffff, s60                             // 0000000070D4: 863C3CFF FFFEFFFF
	s_and_b32 s61, 0xfffeffff, s61                             // 0000000070DC: 863D3DFF FFFEFFFF
	v_cndmask_b32_e64 v58, v58, v178, s[60:61]                 // 0000000070E4: D100003A 00F3653A
	s_lshl_b32 s60, s60, 1                                     // 0000000070EC: 8E3C813C
	s_lshl_b32 s61, s61, 1                                     // 0000000070F0: 8E3D813D
	s_and_b32 s60, 0xfffeffff, s60                             // 0000000070F4: 863C3CFF FFFEFFFF
	s_and_b32 s61, 0xfffeffff, s61                             // 0000000070FC: 863D3DFF FFFEFFFF
	v_cndmask_b32_e64 v59, v59, v178, s[60:61]                 // 000000007104: D100003B 00F3653B
	s_branch label_0CED                                        // 00000000710C: BF820020

0000000000007110 <label_0CCD>:
	v_mov_b32_e32 v56, v178                                    // 000000007110: 7E7003B2
	v_mov_b32_e32 v57, v178                                    // 000000007114: 7E7203B2
	v_mov_b32_e32 v58, v178                                    // 000000007118: 7E7403B2
	v_mov_b32_e32 v59, v178                                    // 00000000711C: 7E7603B2
	s_branch label_0CED                                        // 000000007120: BF82001B

0000000000007124 <label_0CD2>:
	v_cndmask_b32_e64 v60, v60, v178, s[60:61]                 // 000000007124: D100003C 00F3653C
	s_lshl_b32 s60, s60, 1                                     // 00000000712C: 8E3C813C
	s_lshl_b32 s61, s61, 1                                     // 000000007130: 8E3D813D
	s_and_b32 s60, 0xfffeffff, s60                             // 000000007134: 863C3CFF FFFEFFFF
	s_and_b32 s61, 0xfffeffff, s61                             // 00000000713C: 863D3DFF FFFEFFFF
	v_cndmask_b32_e64 v61, v61, v178, s[60:61]                 // 000000007144: D100003D 00F3653D
	s_lshl_b32 s60, s60, 1                                     // 00000000714C: 8E3C813C
	s_lshl_b32 s61, s61, 1                                     // 000000007150: 8E3D813D
	s_and_b32 s60, 0xfffeffff, s60                             // 000000007154: 863C3CFF FFFEFFFF
	s_and_b32 s61, 0xfffeffff, s61                             // 00000000715C: 863D3DFF FFFEFFFF
	v_cndmask_b32_e64 v62, v62, v178, s[60:61]                 // 000000007164: D100003E 00F3653E
	s_lshl_b32 s60, s60, 1                                     // 00000000716C: 8E3C813C
	s_lshl_b32 s61, s61, 1                                     // 000000007170: 8E3D813D
	s_and_b32 s60, 0xfffeffff, s60                             // 000000007174: 863C3CFF FFFEFFFF
	s_and_b32 s61, 0xfffeffff, s61                             // 00000000717C: 863D3DFF FFFEFFFF
	v_cndmask_b32_e64 v63, v63, v178, s[60:61]                 // 000000007184: D100003F 00F3653F
	s_branch label_0CF2                                        // 00000000718C: BF820005

0000000000007190 <label_0CED>:
	v_mov_b32_e32 v60, v178                                    // 000000007190: 7E7803B2
	v_mov_b32_e32 v61, v178                                    // 000000007194: 7E7A03B2
	v_mov_b32_e32 v62, v178                                    // 000000007198: 7E7C03B2
	v_mov_b32_e32 v63, v178                                    // 00000000719C: 7E7E03B2
	s_branch label_0CF2                                        // 0000000071A0: BF820000

00000000000071a4 <label_0CF2>:
	s_addk_i32 s74, 0x1                                        // 0000000071A4: B74A0001
	s_add_u32 s62, 0, s46                                      // 0000000071A8: 803E2E80
	s_cmp_lt_i32 s74, s62                                      // 0000000071AC: BF043E4A
	s_cbranch_scc1 label_0D1E                                  // 0000000071B0: BF850028
	s_cmp_eq_i32 s74, s62                                      // 0000000071B4: BF003E4A
	s_cbranch_scc1 label_0D03                                  // 0000000071B8: BF85000B
	s_add_u32 s62, 4, s46                                      // 0000000071BC: 803E2E84
	s_cmp_lt_i32 s74, s62                                      // 0000000071C0: BF043E4A
	s_cbranch_scc1 label_0D3E                                  // 0000000071C4: BF850043
	s_cmp_eq_i32 s74, s62                                      // 0000000071C8: BF003E4A
	s_cbranch_scc1 label_0D23                                  // 0000000071CC: BF850026
	s_add_u32 s62, 8, s46                                      // 0000000071D0: 803E2E88
	s_cmp_lt_i32 s74, s62                                      // 0000000071D4: BF043E4A
	s_cbranch_scc1 label_0D5E                                  // 0000000071D8: BF85005E
	s_cmp_eq_i32 s74, s62                                      // 0000000071DC: BF003E4A
	s_cbranch_scc1 label_0D43                                  // 0000000071E0: BF850041
	s_branch label_0D63                                        // 0000000071E4: BF820060

00000000000071e8 <label_0D03>:
	v_cndmask_b32_e64 v64, v64, v178, s[60:61]                 // 0000000071E8: D1000040 00F36540
	s_lshl_b32 s60, s60, 1                                     // 0000000071F0: 8E3C813C
	s_lshl_b32 s61, s61, 1                                     // 0000000071F4: 8E3D813D
	s_and_b32 s60, 0xfffeffff, s60                             // 0000000071F8: 863C3CFF FFFEFFFF
	s_and_b32 s61, 0xfffeffff, s61                             // 000000007200: 863D3DFF FFFEFFFF
	v_cndmask_b32_e64 v65, v65, v178, s[60:61]                 // 000000007208: D1000041 00F36541
	s_lshl_b32 s60, s60, 1                                     // 000000007210: 8E3C813C
	s_lshl_b32 s61, s61, 1                                     // 000000007214: 8E3D813D
	s_and_b32 s60, 0xfffeffff, s60                             // 000000007218: 863C3CFF FFFEFFFF
	s_and_b32 s61, 0xfffeffff, s61                             // 000000007220: 863D3DFF FFFEFFFF
	v_cndmask_b32_e64 v66, v66, v178, s[60:61]                 // 000000007228: D1000042 00F36542
	s_lshl_b32 s60, s60, 1                                     // 000000007230: 8E3C813C
	s_lshl_b32 s61, s61, 1                                     // 000000007234: 8E3D813D
	s_and_b32 s60, 0xfffeffff, s60                             // 000000007238: 863C3CFF FFFEFFFF
	s_and_b32 s61, 0xfffeffff, s61                             // 000000007240: 863D3DFF FFFEFFFF
	v_cndmask_b32_e64 v67, v67, v178, s[60:61]                 // 000000007248: D1000043 00F36543
	s_branch label_0D3E                                        // 000000007250: BF820020

0000000000007254 <label_0D1E>:
	v_mov_b32_e32 v64, v178                                    // 000000007254: 7E8003B2
	v_mov_b32_e32 v65, v178                                    // 000000007258: 7E8203B2
	v_mov_b32_e32 v66, v178                                    // 00000000725C: 7E8403B2
	v_mov_b32_e32 v67, v178                                    // 000000007260: 7E8603B2
	s_branch label_0D3E                                        // 000000007264: BF82001B

0000000000007268 <label_0D23>:
	v_cndmask_b32_e64 v68, v68, v178, s[60:61]                 // 000000007268: D1000044 00F36544
	s_lshl_b32 s60, s60, 1                                     // 000000007270: 8E3C813C
	s_lshl_b32 s61, s61, 1                                     // 000000007274: 8E3D813D
	s_and_b32 s60, 0xfffeffff, s60                             // 000000007278: 863C3CFF FFFEFFFF
	s_and_b32 s61, 0xfffeffff, s61                             // 000000007280: 863D3DFF FFFEFFFF
	v_cndmask_b32_e64 v69, v69, v178, s[60:61]                 // 000000007288: D1000045 00F36545
	s_lshl_b32 s60, s60, 1                                     // 000000007290: 8E3C813C
	s_lshl_b32 s61, s61, 1                                     // 000000007294: 8E3D813D
	s_and_b32 s60, 0xfffeffff, s60                             // 000000007298: 863C3CFF FFFEFFFF
	s_and_b32 s61, 0xfffeffff, s61                             // 0000000072A0: 863D3DFF FFFEFFFF
	v_cndmask_b32_e64 v70, v70, v178, s[60:61]                 // 0000000072A8: D1000046 00F36546
	s_lshl_b32 s60, s60, 1                                     // 0000000072B0: 8E3C813C
	s_lshl_b32 s61, s61, 1                                     // 0000000072B4: 8E3D813D
	s_and_b32 s60, 0xfffeffff, s60                             // 0000000072B8: 863C3CFF FFFEFFFF
	s_and_b32 s61, 0xfffeffff, s61                             // 0000000072C0: 863D3DFF FFFEFFFF
	v_cndmask_b32_e64 v71, v71, v178, s[60:61]                 // 0000000072C8: D1000047 00F36547
	s_branch label_0D5E                                        // 0000000072D0: BF820020

00000000000072d4 <label_0D3E>:
	v_mov_b32_e32 v68, v178                                    // 0000000072D4: 7E8803B2
	v_mov_b32_e32 v69, v178                                    // 0000000072D8: 7E8A03B2
	v_mov_b32_e32 v70, v178                                    // 0000000072DC: 7E8C03B2
	v_mov_b32_e32 v71, v178                                    // 0000000072E0: 7E8E03B2
	s_branch label_0D5E                                        // 0000000072E4: BF82001B

00000000000072e8 <label_0D43>:
	v_cndmask_b32_e64 v72, v72, v178, s[60:61]                 // 0000000072E8: D1000048 00F36548
	s_lshl_b32 s60, s60, 1                                     // 0000000072F0: 8E3C813C
	s_lshl_b32 s61, s61, 1                                     // 0000000072F4: 8E3D813D
	s_and_b32 s60, 0xfffeffff, s60                             // 0000000072F8: 863C3CFF FFFEFFFF
	s_and_b32 s61, 0xfffeffff, s61                             // 000000007300: 863D3DFF FFFEFFFF
	v_cndmask_b32_e64 v73, v73, v178, s[60:61]                 // 000000007308: D1000049 00F36549
	s_lshl_b32 s60, s60, 1                                     // 000000007310: 8E3C813C
	s_lshl_b32 s61, s61, 1                                     // 000000007314: 8E3D813D
	s_and_b32 s60, 0xfffeffff, s60                             // 000000007318: 863C3CFF FFFEFFFF
	s_and_b32 s61, 0xfffeffff, s61                             // 000000007320: 863D3DFF FFFEFFFF
	v_cndmask_b32_e64 v74, v74, v178, s[60:61]                 // 000000007328: D100004A 00F3654A
	s_lshl_b32 s60, s60, 1                                     // 000000007330: 8E3C813C
	s_lshl_b32 s61, s61, 1                                     // 000000007334: 8E3D813D
	s_and_b32 s60, 0xfffeffff, s60                             // 000000007338: 863C3CFF FFFEFFFF
	s_and_b32 s61, 0xfffeffff, s61                             // 000000007340: 863D3DFF FFFEFFFF
	v_cndmask_b32_e64 v75, v75, v178, s[60:61]                 // 000000007348: D100004B 00F3654B
	s_branch label_0D63                                        // 000000007350: BF820005

0000000000007354 <label_0D5E>:
	v_mov_b32_e32 v72, v178                                    // 000000007354: 7E9003B2
	v_mov_b32_e32 v73, v178                                    // 000000007358: 7E9203B2
	v_mov_b32_e32 v74, v178                                    // 00000000735C: 7E9403B2
	v_mov_b32_e32 v75, v178                                    // 000000007360: 7E9603B2
	s_branch label_0D63                                        // 000000007364: BF820000

0000000000007368 <label_0D63>:
	s_cmp_lt_i32 s101, 0xc0                                    // 000000007368: BF04FF65 000000C0
	s_cbranch_scc0 label_0DDC                                  // 000000007370: BF84006D
	s_cmp_le_i32 s101, 64                                      // 000000007374: BF05C065
	s_cbranch_scc1 label_0D6F                                  // 000000007378: BF850007
	s_cmp_le_i32 s101, 0x80                                    // 00000000737C: BF05FF65 00000080
	s_cbranch_scc1 label_0D93                                  // 000000007384: BF85001F
	s_cmp_lt_i32 s101, 0xc0                                    // 000000007388: BF04FF65 000000C0
	s_cbranch_scc1 label_0DB7                                  // 000000007390: BF850040
	s_branch label_0DDC                                        // 000000007394: BF820064

0000000000007398 <label_0D6F>:
	s_mov_b32 s60, 0                                           // 000000007398: BEBC0080
	v_and_b32_e32 v32, 15, v0                                  // 00000000739C: 2640008F
	v_add_u32_e64 v32, v32, s60                                // 0000000073A0: D1340020 00007920
	v_mul_i32_i24_e64 v33, s46, 16                             // 0000000073A8: D1060021 0001202E
	v_add_u32_e32 v32, v32, v33                                // 0000000073B0: 68404320
	v_cmp_lt_u32_e64 s[60:61], v32, s101                       // 0000000073B4: D0C9003C 0000CB20
	s_nop 1                                                    // 0000000073BC: BF800001
	v_cndmask_b32_e64 v52, v178, v52, s[60:61]                 // 0000000073C0: D1000034 00F269B2
	v_cndmask_b32_e64 v64, v178, v64, s[60:61]                 // 0000000073C8: D1000040 00F281B2
	v_cndmask_b32_e64 v53, v178, v53, s[60:61]                 // 0000000073D0: D1000035 00F26BB2
	v_cndmask_b32_e64 v65, v178, v65, s[60:61]                 // 0000000073D8: D1000041 00F283B2
	v_cndmask_b32_e64 v54, v178, v54, s[60:61]                 // 0000000073E0: D1000036 00F26DB2
	v_cndmask_b32_e64 v66, v178, v66, s[60:61]                 // 0000000073E8: D1000042 00F285B2
	v_cndmask_b32_e64 v55, v178, v55, s[60:61]                 // 0000000073F0: D1000037 00F26FB2
	v_cndmask_b32_e64 v67, v178, v67, s[60:61]                 // 0000000073F8: D1000043 00F287B2
	s_branch label_0DAE                                        // 000000007400: BF82001B

0000000000007404 <label_0D93>:
	s_mov_b32 s60, 64                                          // 000000007404: BEBC00C0
	v_and_b32_e32 v32, 15, v0                                  // 000000007408: 2640008F
	v_add_u32_e64 v32, v32, s60                                // 00000000740C: D1340020 00007920
	v_mul_i32_i24_e64 v33, s46, 16                             // 000000007414: D1060021 0001202E
	v_add_u32_e32 v32, v32, v33                                // 00000000741C: 68404320
	v_cmp_lt_u32_e64 s[60:61], v32, s101                       // 000000007420: D0C9003C 0000CB20
	s_nop 1                                                    // 000000007428: BF800001
	v_cndmask_b32_e64 v56, v178, v56, s[60:61]                 // 00000000742C: D1000038 00F271B2
	v_cndmask_b32_e64 v68, v178, v68, s[60:61]                 // 000000007434: D1000044 00F289B2
	v_cndmask_b32_e64 v57, v178, v57, s[60:61]                 // 00000000743C: D1000039 00F273B2
	v_cndmask_b32_e64 v69, v178, v69, s[60:61]                 // 000000007444: D1000045 00F28BB2
	v_cndmask_b32_e64 v58, v178, v58, s[60:61]                 // 00000000744C: D100003A 00F275B2
	v_cndmask_b32_e64 v70, v178, v70, s[60:61]                 // 000000007454: D1000046 00F28DB2
	v_cndmask_b32_e64 v59, v178, v59, s[60:61]                 // 00000000745C: D100003B 00F277B2
	v_cndmask_b32_e64 v71, v178, v71, s[60:61]                 // 000000007464: D1000047 00F28FB2
	s_branch label_0DD3                                        // 00000000746C: BF820025

0000000000007470 <label_0DAE>:
	v_mov_b32_e32 v56, v178                                    // 000000007470: 7E7003B2
	v_mov_b32_e32 v68, v178                                    // 000000007474: 7E8803B2
	v_mov_b32_e32 v57, v178                                    // 000000007478: 7E7203B2
	v_mov_b32_e32 v69, v178                                    // 00000000747C: 7E8A03B2
	v_mov_b32_e32 v58, v178                                    // 000000007480: 7E7403B2
	v_mov_b32_e32 v70, v178                                    // 000000007484: 7E8C03B2
	v_mov_b32_e32 v59, v178                                    // 000000007488: 7E7603B2
	v_mov_b32_e32 v71, v178                                    // 00000000748C: 7E8E03B2
	s_branch label_0DD3                                        // 000000007490: BF82001C

0000000000007494 <label_0DB7>:
	s_mov_b32 s60, 0x80                                        // 000000007494: BEBC00FF 00000080
	v_and_b32_e32 v32, 15, v0                                  // 00000000749C: 2640008F
	v_add_u32_e64 v32, v32, s60                                // 0000000074A0: D1340020 00007920
	v_mul_i32_i24_e64 v33, s46, 16                             // 0000000074A8: D1060021 0001202E
	v_add_u32_e32 v32, v32, v33                                // 0000000074B0: 68404320
	v_cmp_lt_u32_e64 s[60:61], v32, s101                       // 0000000074B4: D0C9003C 0000CB20
	s_nop 1                                                    // 0000000074BC: BF800001
	v_cndmask_b32_e64 v60, v178, v60, s[60:61]                 // 0000000074C0: D100003C 00F279B2
	v_cndmask_b32_e64 v72, v178, v72, s[60:61]                 // 0000000074C8: D1000048 00F291B2
	v_cndmask_b32_e64 v61, v178, v61, s[60:61]                 // 0000000074D0: D100003D 00F27BB2
	v_cndmask_b32_e64 v73, v178, v73, s[60:61]                 // 0000000074D8: D1000049 00F293B2
	v_cndmask_b32_e64 v62, v178, v62, s[60:61]                 // 0000000074E0: D100003E 00F27DB2
	v_cndmask_b32_e64 v74, v178, v74, s[60:61]                 // 0000000074E8: D100004A 00F295B2
	v_cndmask_b32_e64 v63, v178, v63, s[60:61]                 // 0000000074F0: D100003F 00F27FB2
	v_cndmask_b32_e64 v75, v178, v75, s[60:61]                 // 0000000074F8: D100004B 00F297B2
	s_branch label_0DDC                                        // 000000007500: BF820009

0000000000007504 <label_0DD3>:
	v_mov_b32_e32 v60, v178                                    // 000000007504: 7E7803B2
	v_mov_b32_e32 v72, v178                                    // 000000007508: 7E9003B2
	v_mov_b32_e32 v61, v178                                    // 00000000750C: 7E7A03B2
	v_mov_b32_e32 v73, v178                                    // 000000007510: 7E9203B2
	v_mov_b32_e32 v62, v178                                    // 000000007514: 7E7C03B2
	v_mov_b32_e32 v74, v178                                    // 000000007518: 7E9403B2
	v_mov_b32_e32 v63, v178                                    // 00000000751C: 7E7E03B2
	v_mov_b32_e32 v75, v178                                    // 000000007520: 7E9603B2
	s_branch label_0DDC                                        // 000000007524: BF820000

0000000000007528 <label_0DDC>:
	s_addk_i32 s74, 0x1                                        // 000000007528: B74A0001
	s_waitcnt lgkmcnt(8)                                       // 00000000752C: BF8CC87F
	s_barrier                                                  // 000000007530: BF8A0000
	v_mfma_f32_16x16x16_bf16 v[76:79], v[108:109], a[72:73], 0 // 000000007534: D3E1004C 1202916C
	ds_read_b128 a[96:99], v14 offset:4352                     // 00000000753C: DBFE1100 6000000E
	ds_read_b128 a[100:103], v14 offset:4864                   // 000000007544: DBFE1300 6400000E
	v_mfma_f32_16x16x16_bf16 v[76:79], v[110:111], a[74:75], v[76:79]// 00000000754C: D3E1004C 1532956E
	v_fma_f32 v52, v52, s57, -v140                             // 000000007554: D1CB0034 86307334
	v_fma_f32 v53, v53, s57, -v141                             // 00000000755C: D1CB0035 86347335
	v_fma_f32 v54, v54, s57, -v142                             // 000000007564: D1CB0036 86387336
	v_fma_f32 v55, v55, s57, -v143                             // 00000000756C: D1CB0037 863C7337
	v_fma_f32 v56, v56, s57, -v140                             // 000000007574: D1CB0038 86307338
	v_fma_f32 v57, v57, s57, -v141                             // 00000000757C: D1CB0039 86347339
	v_mfma_f32_16x16x16_bf16 v[76:79], v[112:113], a[76:77], v[76:79]// 000000007584: D3E1004C 15329970
	v_fma_f32 v58, v58, s57, -v142                             // 00000000758C: D1CB003A 8638733A
	v_fma_f32 v59, v59, s57, -v143                             // 000000007594: D1CB003B 863C733B
	v_fma_f32 v60, v60, s57, -v140                             // 00000000759C: D1CB003C 8630733C
	v_fma_f32 v61, v61, s57, -v141                             // 0000000075A4: D1CB003D 8634733D
	v_fma_f32 v62, v62, s57, -v142                             // 0000000075AC: D1CB003E 8638733E
	v_fma_f32 v63, v63, s57, -v143                             // 0000000075B4: D1CB003F 863C733F
	v_mfma_f32_16x16x16_bf16 v[76:79], v[114:115], a[78:79], v[76:79]// 0000000075BC: D3E1004C 15329D72
	v_fma_f32 v64, v64, s57, -v144                             // 0000000075C4: D1CB0040 86407340
	v_fma_f32 v65, v65, s57, -v145                             // 0000000075CC: D1CB0041 86447341
	v_fma_f32 v66, v66, s57, -v146                             // 0000000075D4: D1CB0042 86487342
	v_fma_f32 v67, v67, s57, -v147                             // 0000000075DC: D1CB0043 864C7343
	v_fma_f32 v68, v68, s57, -v144                             // 0000000075E4: D1CB0044 86407344
	v_fma_f32 v69, v69, s57, -v145                             // 0000000075EC: D1CB0045 86447345
	v_mfma_f32_16x16x16_bf16 v[80:83], v[108:109], a[80:81], 0 // 0000000075F4: D3E10050 1202A16C
	ds_read_b128 a[104:107], v14 offset:6528                   // 0000000075FC: DBFE1980 6800000E
	ds_read_b128 a[108:111], v14 offset:7040                   // 000000007604: DBFE1B80 6C00000E
	v_mfma_f32_16x16x16_bf16 v[80:83], v[110:111], a[82:83], v[80:83]// 00000000760C: D3E10050 1542A56E
	v_fma_f32 v70, v70, s57, -v146                             // 000000007614: D1CB0046 86487346
	v_fma_f32 v71, v71, s57, -v147                             // 00000000761C: D1CB0047 864C7347
	v_fma_f32 v72, v72, s57, -v144                             // 000000007624: D1CB0048 86407348
	v_fma_f32 v73, v73, s57, -v145                             // 00000000762C: D1CB0049 86447349
	v_fma_f32 v74, v74, s57, -v146                             // 000000007634: D1CB004A 8648734A
	v_fma_f32 v75, v75, s57, -v147                             // 00000000763C: D1CB004B 864C734B
	v_mfma_f32_16x16x16_bf16 v[80:83], v[112:113], a[84:85], v[80:83]// 000000007644: D3E10050 1542A970
	v_exp_f32_e32 v52, v52                                     // 00000000764C: 7E684134
	v_exp_f32_e32 v53, v53                                     // 000000007650: 7E6A4135
	v_mfma_f32_16x16x16_bf16 v[80:83], v[114:115], a[86:87], v[80:83]// 000000007654: D3E10050 1542AD72
	v_exp_f32_e32 v54, v54                                     // 00000000765C: 7E6C4136
	v_exp_f32_e32 v55, v55                                     // 000000007660: 7E6E4137
	v_mfma_f32_16x16x16_bf16 v[84:87], v[108:109], a[88:89], 0 // 000000007664: D3E10054 1202B16C
	ds_read_b64 v[156:157], v21 offset:31232                   // 00000000766C: D8EC7A00 9C000015
	ds_read_b64 v[158:159], v21 offset:33280                   // 000000007674: D8EC8200 9E000015
	v_mfma_f32_16x16x16_bf16 v[84:87], v[110:111], a[90:91], v[84:87]// 00000000767C: D3E10054 1552B56E
	v_exp_f32_e32 v56, v56                                     // 000000007684: 7E704138
	v_exp_f32_e32 v57, v57                                     // 000000007688: 7E724139
	v_mfma_f32_16x16x16_bf16 v[84:87], v[112:113], a[92:93], v[84:87]// 00000000768C: D3E10054 1552B970
	ds_read_b64 v[160:161], v21 offset:35328                   // 000000007694: D8EC8A00 A0000015
	ds_read_b64 v[162:163], v21 offset:37376                   // 00000000769C: D8EC9200 A2000015
	v_mfma_f32_16x16x16_bf16 v[84:87], v[114:115], a[94:95], v[84:87]// 0000000076A4: D3E10054 1552BD72
	v_exp_f32_e32 v58, v58                                     // 0000000076AC: 7E74413A
	v_exp_f32_e32 v59, v59                                     // 0000000076B0: 7E76413B
	v_mfma_f32_16x16x16_bf16 v[88:91], v[116:117], a[72:73], 0 // 0000000076B4: D3E10058 12029174
	v_exp_f32_e32 v60, v60                                     // 0000000076BC: 7E78413C
	v_exp_f32_e32 v61, v61                                     // 0000000076C0: 7E7A413D
	v_mfma_f32_16x16x16_bf16 v[88:91], v[118:119], a[74:75], v[88:91]// 0000000076C4: D3E10058 15629576
	v_exp_f32_e32 v62, v62                                     // 0000000076CC: 7E7C413E
	v_exp_f32_e32 v63, v63                                     // 0000000076D0: 7E7E413F
	v_mfma_f32_16x16x16_bf16 v[88:91], v[120:121], a[76:77], v[88:91]// 0000000076D4: D3E10058 15629978
	v_exp_f32_e32 v64, v64                                     // 0000000076DC: 7E804140
	v_exp_f32_e32 v65, v65                                     // 0000000076E0: 7E824141
	v_mfma_f32_16x16x16_bf16 v[88:91], v[122:123], a[78:79], v[88:91]// 0000000076E4: D3E10058 15629D7A
	v_exp_f32_e32 v66, v66                                     // 0000000076EC: 7E844142
	v_exp_f32_e32 v67, v67                                     // 0000000076F0: 7E864143
	v_mfma_f32_16x16x16_bf16 v[92:95], v[116:117], a[80:81], 0 // 0000000076F4: D3E1005C 1202A174
	v_exp_f32_e32 v68, v68                                     // 0000000076FC: 7E884144
	v_exp_f32_e32 v69, v69                                     // 000000007700: 7E8A4145
	v_mfma_f32_16x16x16_bf16 v[92:95], v[118:119], a[82:83], v[92:95]// 000000007704: D3E1005C 1572A576
	v_exp_f32_e32 v70, v70                                     // 00000000770C: 7E8C4146
	v_exp_f32_e32 v71, v71                                     // 000000007710: 7E8E4147
	v_mfma_f32_16x16x16_bf16 v[92:95], v[120:121], a[84:85], v[92:95]// 000000007714: D3E1005C 1572A978
	v_exp_f32_e32 v72, v72                                     // 00000000771C: 7E904148
	v_exp_f32_e32 v73, v73                                     // 000000007720: 7E924149
	v_mfma_f32_16x16x16_bf16 v[92:95], v[122:123], a[86:87], v[92:95]// 000000007724: D3E1005C 1572AD7A
	v_exp_f32_e32 v74, v74                                     // 00000000772C: 7E94414A
	v_exp_f32_e32 v75, v75                                     // 000000007730: 7E96414B
	v_mfma_f32_16x16x16_bf16 v[96:99], v[116:117], a[88:89], 0 // 000000007734: D3E10060 1202B174
	v_cmp_u_f32_e64 s[78:79], v52, v52                         // 00000000773C: D048004E 00026934
	v_bfe_u32 v228, v52, 16, 1                                 // 000000007744: D1C800E4 02052134
	v_add3_u32 v228, v52, v228, v231                           // 00000000774C: D1FF00E4 079FC934
	v_cndmask_b32_e64 v32, v228, v230, s[78:79]                // 000000007754: D1000020 013BCDE4
	v_lshrrev_b32_e32 v32, 16, v32                             // 00000000775C: 20404090
	v_cmp_u_f32_e64 s[78:79], v53, v53                         // 000000007760: D048004E 00026B35
	v_bfe_u32 v228, v53, 16, 1                                 // 000000007768: D1C800E4 02052135
	v_add3_u32 v228, v53, v228, v231                           // 000000007770: D1FF00E4 079FC935
	v_cndmask_b32_e64 v33, v228, v230, s[78:79]                // 000000007778: D1000021 013BCDE4
	v_and_or_b32 v164, v33, v229, v32                          // 000000007780: D20100A4 0483CB21
	v_cmp_u_f32_e64 s[78:79], v54, v54                         // 000000007788: D048004E 00026D36
	v_bfe_u32 v228, v54, 16, 1                                 // 000000007790: D1C800E4 02052136
	v_add3_u32 v228, v54, v228, v231                           // 000000007798: D1FF00E4 079FC936
	v_cndmask_b32_e64 v32, v228, v230, s[78:79]                // 0000000077A0: D1000020 013BCDE4
	v_lshrrev_b32_e32 v32, 16, v32                             // 0000000077A8: 20404090
	v_cmp_u_f32_e64 s[78:79], v55, v55                         // 0000000077AC: D048004E 00026F37
	v_bfe_u32 v228, v55, 16, 1                                 // 0000000077B4: D1C800E4 02052137
	v_add3_u32 v228, v55, v228, v231                           // 0000000077BC: D1FF00E4 079FC937
	v_cndmask_b32_e64 v33, v228, v230, s[78:79]                // 0000000077C4: D1000021 013BCDE4
	v_and_or_b32 v165, v33, v229, v32                          // 0000000077CC: D20100A5 0483CB21
	v_cmp_u_f32_e64 s[78:79], v56, v56                         // 0000000077D4: D048004E 00027138
	v_bfe_u32 v228, v56, 16, 1                                 // 0000000077DC: D1C800E4 02052138
	v_add3_u32 v228, v56, v228, v231                           // 0000000077E4: D1FF00E4 079FC938
	v_cndmask_b32_e64 v32, v228, v230, s[78:79]                // 0000000077EC: D1000020 013BCDE4
	v_lshrrev_b32_e32 v32, 16, v32                             // 0000000077F4: 20404090
	v_cmp_u_f32_e64 s[78:79], v57, v57                         // 0000000077F8: D048004E 00027339
	v_bfe_u32 v228, v57, 16, 1                                 // 000000007800: D1C800E4 02052139
	v_add3_u32 v228, v57, v228, v231                           // 000000007808: D1FF00E4 079FC939
	v_cndmask_b32_e64 v33, v228, v230, s[78:79]                // 000000007810: D1000021 013BCDE4
	v_and_or_b32 v166, v33, v229, v32                          // 000000007818: D20100A6 0483CB21
	v_cmp_u_f32_e64 s[78:79], v58, v58                         // 000000007820: D048004E 0002753A
	v_bfe_u32 v228, v58, 16, 1                                 // 000000007828: D1C800E4 0205213A
	v_add3_u32 v228, v58, v228, v231                           // 000000007830: D1FF00E4 079FC93A
	v_cndmask_b32_e64 v32, v228, v230, s[78:79]                // 000000007838: D1000020 013BCDE4
	v_lshrrev_b32_e32 v32, 16, v32                             // 000000007840: 20404090
	v_cmp_u_f32_e64 s[78:79], v59, v59                         // 000000007844: D048004E 0002773B
	v_bfe_u32 v228, v59, 16, 1                                 // 00000000784C: D1C800E4 0205213B
	v_add3_u32 v228, v59, v228, v231                           // 000000007854: D1FF00E4 079FC93B
	v_cndmask_b32_e64 v33, v228, v230, s[78:79]                // 00000000785C: D1000021 013BCDE4
	v_and_or_b32 v167, v33, v229, v32                          // 000000007864: D20100A7 0483CB21
	v_cmp_u_f32_e64 s[78:79], v60, v60                         // 00000000786C: D048004E 0002793C
	v_bfe_u32 v228, v60, 16, 1                                 // 000000007874: D1C800E4 0205213C
	v_add3_u32 v228, v60, v228, v231                           // 00000000787C: D1FF00E4 079FC93C
	v_cndmask_b32_e64 v32, v228, v230, s[78:79]                // 000000007884: D1000020 013BCDE4
	v_lshrrev_b32_e32 v32, 16, v32                             // 00000000788C: 20404090
	v_cmp_u_f32_e64 s[78:79], v61, v61                         // 000000007890: D048004E 00027B3D
	v_bfe_u32 v228, v61, 16, 1                                 // 000000007898: D1C800E4 0205213D
	v_add3_u32 v228, v61, v228, v231                           // 0000000078A0: D1FF00E4 079FC93D
	v_cndmask_b32_e64 v33, v228, v230, s[78:79]                // 0000000078A8: D1000021 013BCDE4
	v_and_or_b32 v168, v33, v229, v32                          // 0000000078B0: D20100A8 0483CB21
	v_cmp_u_f32_e64 s[78:79], v62, v62                         // 0000000078B8: D048004E 00027D3E
	v_bfe_u32 v228, v62, 16, 1                                 // 0000000078C0: D1C800E4 0205213E
	v_add3_u32 v228, v62, v228, v231                           // 0000000078C8: D1FF00E4 079FC93E
	v_cndmask_b32_e64 v32, v228, v230, s[78:79]                // 0000000078D0: D1000020 013BCDE4
	v_lshrrev_b32_e32 v32, 16, v32                             // 0000000078D8: 20404090
	v_cmp_u_f32_e64 s[78:79], v63, v63                         // 0000000078DC: D048004E 00027F3F
	v_bfe_u32 v228, v63, 16, 1                                 // 0000000078E4: D1C800E4 0205213F
	v_add3_u32 v228, v63, v228, v231                           // 0000000078EC: D1FF00E4 079FC93F
	v_cndmask_b32_e64 v33, v228, v230, s[78:79]                // 0000000078F4: D1000021 013BCDE4
	v_and_or_b32 v169, v33, v229, v32                          // 0000000078FC: D20100A9 0483CB21
	v_mfma_f32_16x16x16_bf16 v[96:99], v[118:119], a[90:91], v[96:99]// 000000007904: D3E10060 1582B576
	v_cmp_u_f32_e64 s[78:79], v64, v64                         // 00000000790C: D048004E 00028140
	v_bfe_u32 v228, v64, 16, 1                                 // 000000007914: D1C800E4 02052140
	v_add3_u32 v228, v64, v228, v231                           // 00000000791C: D1FF00E4 079FC940
	v_cndmask_b32_e64 v32, v228, v230, s[78:79]                // 000000007924: D1000020 013BCDE4
	v_lshrrev_b32_e32 v32, 16, v32                             // 00000000792C: 20404090
	v_cmp_u_f32_e64 s[78:79], v65, v65                         // 000000007930: D048004E 00028341
	v_bfe_u32 v228, v65, 16, 1                                 // 000000007938: D1C800E4 02052141
	v_add3_u32 v228, v65, v228, v231                           // 000000007940: D1FF00E4 079FC941
	v_cndmask_b32_e64 v33, v228, v230, s[78:79]                // 000000007948: D1000021 013BCDE4
	v_and_or_b32 v170, v33, v229, v32                          // 000000007950: D20100AA 0483CB21
	v_cmp_u_f32_e64 s[78:79], v66, v66                         // 000000007958: D048004E 00028542
	v_bfe_u32 v228, v66, 16, 1                                 // 000000007960: D1C800E4 02052142
	v_add3_u32 v228, v66, v228, v231                           // 000000007968: D1FF00E4 079FC942
	v_cndmask_b32_e64 v32, v228, v230, s[78:79]                // 000000007970: D1000020 013BCDE4
	v_lshrrev_b32_e32 v32, 16, v32                             // 000000007978: 20404090
	v_cmp_u_f32_e64 s[78:79], v67, v67                         // 00000000797C: D048004E 00028743
	v_bfe_u32 v228, v67, 16, 1                                 // 000000007984: D1C800E4 02052143
	v_add3_u32 v228, v67, v228, v231                           // 00000000798C: D1FF00E4 079FC943
	v_cndmask_b32_e64 v33, v228, v230, s[78:79]                // 000000007994: D1000021 013BCDE4
	v_and_or_b32 v171, v33, v229, v32                          // 00000000799C: D20100AB 0483CB21
	v_cmp_u_f32_e64 s[78:79], v68, v68                         // 0000000079A4: D048004E 00028944
	v_bfe_u32 v228, v68, 16, 1                                 // 0000000079AC: D1C800E4 02052144
	v_add3_u32 v228, v68, v228, v231                           // 0000000079B4: D1FF00E4 079FC944
	v_cndmask_b32_e64 v32, v228, v230, s[78:79]                // 0000000079BC: D1000020 013BCDE4
	v_lshrrev_b32_e32 v32, 16, v32                             // 0000000079C4: 20404090
	v_cmp_u_f32_e64 s[78:79], v69, v69                         // 0000000079C8: D048004E 00028B45
	v_bfe_u32 v228, v69, 16, 1                                 // 0000000079D0: D1C800E4 02052145
	v_add3_u32 v228, v69, v228, v231                           // 0000000079D8: D1FF00E4 079FC945
	v_cndmask_b32_e64 v33, v228, v230, s[78:79]                // 0000000079E0: D1000021 013BCDE4
	v_and_or_b32 v172, v33, v229, v32                          // 0000000079E8: D20100AC 0483CB21
	v_cmp_u_f32_e64 s[78:79], v70, v70                         // 0000000079F0: D048004E 00028D46
	v_bfe_u32 v228, v70, 16, 1                                 // 0000000079F8: D1C800E4 02052146
	v_add3_u32 v228, v70, v228, v231                           // 000000007A00: D1FF00E4 079FC946
	v_cndmask_b32_e64 v32, v228, v230, s[78:79]                // 000000007A08: D1000020 013BCDE4
	v_lshrrev_b32_e32 v32, 16, v32                             // 000000007A10: 20404090
	v_cmp_u_f32_e64 s[78:79], v71, v71                         // 000000007A14: D048004E 00028F47
	v_bfe_u32 v228, v71, 16, 1                                 // 000000007A1C: D1C800E4 02052147
	v_add3_u32 v228, v71, v228, v231                           // 000000007A24: D1FF00E4 079FC947
	v_cndmask_b32_e64 v33, v228, v230, s[78:79]                // 000000007A2C: D1000021 013BCDE4
	v_and_or_b32 v173, v33, v229, v32                          // 000000007A34: D20100AD 0483CB21
	v_cmp_u_f32_e64 s[78:79], v72, v72                         // 000000007A3C: D048004E 00029148
	v_bfe_u32 v228, v72, 16, 1                                 // 000000007A44: D1C800E4 02052148
	v_add3_u32 v228, v72, v228, v231                           // 000000007A4C: D1FF00E4 079FC948
	v_cndmask_b32_e64 v32, v228, v230, s[78:79]                // 000000007A54: D1000020 013BCDE4
	v_lshrrev_b32_e32 v32, 16, v32                             // 000000007A5C: 20404090
	v_cmp_u_f32_e64 s[78:79], v73, v73                         // 000000007A60: D048004E 00029349
	v_bfe_u32 v228, v73, 16, 1                                 // 000000007A68: D1C800E4 02052149
	v_add3_u32 v228, v73, v228, v231                           // 000000007A70: D1FF00E4 079FC949
	v_cndmask_b32_e64 v33, v228, v230, s[78:79]                // 000000007A78: D1000021 013BCDE4
	v_and_or_b32 v174, v33, v229, v32                          // 000000007A80: D20100AE 0483CB21
	v_cmp_u_f32_e64 s[78:79], v74, v74                         // 000000007A88: D048004E 0002954A
	v_bfe_u32 v228, v74, 16, 1                                 // 000000007A90: D1C800E4 0205214A
	v_add3_u32 v228, v74, v228, v231                           // 000000007A98: D1FF00E4 079FC94A
	v_cndmask_b32_e64 v32, v228, v230, s[78:79]                // 000000007AA0: D1000020 013BCDE4
	v_lshrrev_b32_e32 v32, 16, v32                             // 000000007AA8: 20404090
	v_cmp_u_f32_e64 s[78:79], v75, v75                         // 000000007AAC: D048004E 0002974B
	v_bfe_u32 v228, v75, 16, 1                                 // 000000007AB4: D1C800E4 0205214B
	v_add3_u32 v228, v75, v228, v231                           // 000000007ABC: D1FF00E4 079FC94B
	v_cndmask_b32_e64 v33, v228, v230, s[78:79]                // 000000007AC4: D1000021 013BCDE4
	v_and_or_b32 v175, v33, v229, v32                          // 000000007ACC: D20100AF 0483CB21
	v_mfma_f32_16x16x16_bf16 v[96:99], v[120:121], a[92:93], v[96:99]// 000000007AD4: D3E10060 1582B978
	v_add_u32_e32 v6, s66, v6                                  // 000000007ADC: 680C0C42
	v_add_u32_e32 v7, s66, v7                                  // 000000007AE0: 680E0E42
	v_add_u32_e32 v8, s66, v8                                  // 000000007AE4: 68101042
	v_add_u32_e32 v9, s66, v9                                  // 000000007AE8: 68121242
	v_mfma_f32_16x16x16_bf16 v[96:99], v[122:123], a[94:95], v[96:99]// 000000007AEC: D3E10060 1582BD7A
	s_waitcnt lgkmcnt(0)                                       // 000000007AF4: BF8CC07F
	s_barrier                                                  // 000000007AF8: BF8A0000
	v_mfma_f32_16x16x16_bf16 v[180:183], v[124:125], v[164:165], v[180:183]// 000000007AFC: D3E100B4 06D3497C
	v_subrev_f32_dpp v76, v176, v76 quad_perm:[0,0,0,0] row_mask:0xf bank_mask:0xf// 000000007B04: 069898FA FF0000B0
	v_subrev_f32_dpp v77, v176, v77 quad_perm:[1,1,1,1] row_mask:0xf bank_mask:0xf// 000000007B0C: 069A9AFA FF0055B0
	v_subrev_f32_dpp v78, v176, v78 quad_perm:[2,2,2,2] row_mask:0xf bank_mask:0xf// 000000007B14: 069C9CFA FF00AAB0
	v_subrev_f32_dpp v79, v176, v79 quad_perm:[3,3,3,3] row_mask:0xf bank_mask:0xf// 000000007B1C: 069E9EFA FF00FFB0
	v_subrev_f32_dpp v80, v176, v80 quad_perm:[0,0,0,0] row_mask:0xf bank_mask:0xf// 000000007B24: 06A0A0FA FF0000B0
	v_subrev_f32_dpp v81, v176, v81 quad_perm:[1,1,1,1] row_mask:0xf bank_mask:0xf// 000000007B2C: 06A2A2FA FF0055B0
	v_mfma_f32_16x16x16_bf16 v[184:187], v[126:127], v[164:165], v[184:187]// 000000007B34: D3E100B8 06E3497E
	v_subrev_f32_dpp v82, v176, v82 quad_perm:[2,2,2,2] row_mask:0xf bank_mask:0xf// 000000007B3C: 06A4A4FA FF00AAB0
	v_subrev_f32_dpp v83, v176, v83 quad_perm:[3,3,3,3] row_mask:0xf bank_mask:0xf// 000000007B44: 06A6A6FA FF00FFB0
	v_subrev_f32_dpp v84, v176, v84 quad_perm:[0,0,0,0] row_mask:0xf bank_mask:0xf// 000000007B4C: 06A8A8FA FF0000B0
	v_subrev_f32_dpp v85, v176, v85 quad_perm:[1,1,1,1] row_mask:0xf bank_mask:0xf// 000000007B54: 06AAAAFA FF0055B0
	v_subrev_f32_dpp v86, v176, v86 quad_perm:[2,2,2,2] row_mask:0xf bank_mask:0xf// 000000007B5C: 06ACACFA FF00AAB0
	v_subrev_f32_dpp v87, v176, v87 quad_perm:[3,3,3,3] row_mask:0xf bank_mask:0xf// 000000007B64: 06AEAEFA FF00FFB0
	v_mfma_f32_16x16x16_bf16 v[188:191], v[128:129], v[164:165], v[188:191]// 000000007B6C: D3E100BC 06F34980
	v_mul_f32_e32 v76, v52, v76                                // 000000007B74: 0A989934
	v_mul_f32_e32 v77, v53, v77                                // 000000007B78: 0A9A9B35
	v_mul_f32_e32 v78, v54, v78                                // 000000007B7C: 0A9C9D36
	v_mul_f32_e32 v79, v55, v79                                // 000000007B80: 0A9E9F37
	v_mul_f32_e32 v80, v56, v80                                // 000000007B84: 0AA0A138
	v_mul_f32_e32 v81, v57, v81                                // 000000007B88: 0AA2A339
	v_mfma_f32_16x16x16_bf16 v[192:195], v[130:131], v[164:165], v[192:195]// 000000007B8C: D3E100C0 07034982
	v_mul_f32_e32 v82, v58, v82                                // 000000007B94: 0AA4A53A
	v_mul_f32_e32 v83, v59, v83                                // 000000007B98: 0AA6A73B
	v_mul_f32_e32 v84, v60, v84                                // 000000007B9C: 0AA8A93C
	v_mul_f32_e32 v85, v61, v85                                // 000000007BA0: 0AAAAB3D
	v_mul_f32_e32 v86, v62, v86                                // 000000007BA4: 0AACAD3E
	v_mul_f32_e32 v87, v63, v87                                // 000000007BA8: 0AAEAF3F
	v_mfma_f32_16x16x16_bf16 v[196:199], v[124:125], v[166:167], v[196:199]// 000000007BAC: D3E100C4 07134D7C
	v_cmp_u_f32_e64 s[78:79], v76, v76                         // 000000007BB4: D048004E 0002994C
	v_bfe_u32 v228, v76, 16, 1                                 // 000000007BBC: D1C800E4 0205214C
	v_add3_u32 v228, v76, v228, v231                           // 000000007BC4: D1FF00E4 079FC94C
	v_cndmask_b32_e64 v32, v228, v230, s[78:79]                // 000000007BCC: D1000020 013BCDE4
	v_lshrrev_b32_e32 v32, 16, v32                             // 000000007BD4: 20404090
	v_cmp_u_f32_e64 s[78:79], v77, v77                         // 000000007BD8: D048004E 00029B4D
	v_bfe_u32 v228, v77, 16, 1                                 // 000000007BE0: D1C800E4 0205214D
	v_add3_u32 v228, v77, v228, v231                           // 000000007BE8: D1FF00E4 079FC94D
	v_cndmask_b32_e64 v33, v228, v230, s[78:79]                // 000000007BF0: D1000021 013BCDE4
	v_and_or_b32 v76, v33, v229, v32                           // 000000007BF8: D201004C 0483CB21
	v_cmp_u_f32_e64 s[78:79], v78, v78                         // 000000007C00: D048004E 00029D4E
	v_bfe_u32 v228, v78, 16, 1                                 // 000000007C08: D1C800E4 0205214E
	v_add3_u32 v228, v78, v228, v231                           // 000000007C10: D1FF00E4 079FC94E
	v_cndmask_b32_e64 v32, v228, v230, s[78:79]                // 000000007C18: D1000020 013BCDE4
	v_lshrrev_b32_e32 v32, 16, v32                             // 000000007C20: 20404090
	v_cmp_u_f32_e64 s[78:79], v79, v79                         // 000000007C24: D048004E 00029F4F
	v_bfe_u32 v228, v79, 16, 1                                 // 000000007C2C: D1C800E4 0205214F
	v_add3_u32 v228, v79, v228, v231                           // 000000007C34: D1FF00E4 079FC94F
	v_cndmask_b32_e64 v33, v228, v230, s[78:79]                // 000000007C3C: D1000021 013BCDE4
	v_and_or_b32 v77, v33, v229, v32                           // 000000007C44: D201004D 0483CB21
	v_cmp_u_f32_e64 s[78:79], v80, v80                         // 000000007C4C: D048004E 0002A150
	v_bfe_u32 v228, v80, 16, 1                                 // 000000007C54: D1C800E4 02052150
	v_add3_u32 v228, v80, v228, v231                           // 000000007C5C: D1FF00E4 079FC950
	v_cndmask_b32_e64 v32, v228, v230, s[78:79]                // 000000007C64: D1000020 013BCDE4
	v_lshrrev_b32_e32 v32, 16, v32                             // 000000007C6C: 20404090
	v_cmp_u_f32_e64 s[78:79], v81, v81                         // 000000007C70: D048004E 0002A351
	v_bfe_u32 v228, v81, 16, 1                                 // 000000007C78: D1C800E4 02052151
	v_add3_u32 v228, v81, v228, v231                           // 000000007C80: D1FF00E4 079FC951
	v_cndmask_b32_e64 v33, v228, v230, s[78:79]                // 000000007C88: D1000021 013BCDE4
	v_and_or_b32 v78, v33, v229, v32                           // 000000007C90: D201004E 0483CB21
	v_cmp_u_f32_e64 s[78:79], v82, v82                         // 000000007C98: D048004E 0002A552
	v_bfe_u32 v228, v82, 16, 1                                 // 000000007CA0: D1C800E4 02052152
	v_add3_u32 v228, v82, v228, v231                           // 000000007CA8: D1FF00E4 079FC952
	v_cndmask_b32_e64 v32, v228, v230, s[78:79]                // 000000007CB0: D1000020 013BCDE4
	v_lshrrev_b32_e32 v32, 16, v32                             // 000000007CB8: 20404090
	v_cmp_u_f32_e64 s[78:79], v83, v83                         // 000000007CBC: D048004E 0002A753
	v_bfe_u32 v228, v83, 16, 1                                 // 000000007CC4: D1C800E4 02052153
	v_add3_u32 v228, v83, v228, v231                           // 000000007CCC: D1FF00E4 079FC953
	v_cndmask_b32_e64 v33, v228, v230, s[78:79]                // 000000007CD4: D1000021 013BCDE4
	v_and_or_b32 v79, v33, v229, v32                           // 000000007CDC: D201004F 0483CB21
	v_cmp_u_f32_e64 s[78:79], v84, v84                         // 000000007CE4: D048004E 0002A954
	v_bfe_u32 v228, v84, 16, 1                                 // 000000007CEC: D1C800E4 02052154
	v_add3_u32 v228, v84, v228, v231                           // 000000007CF4: D1FF00E4 079FC954
	v_cndmask_b32_e64 v32, v228, v230, s[78:79]                // 000000007CFC: D1000020 013BCDE4
	v_lshrrev_b32_e32 v32, 16, v32                             // 000000007D04: 20404090
	v_cmp_u_f32_e64 s[78:79], v85, v85                         // 000000007D08: D048004E 0002AB55
	v_bfe_u32 v228, v85, 16, 1                                 // 000000007D10: D1C800E4 02052155
	v_add3_u32 v228, v85, v228, v231                           // 000000007D18: D1FF00E4 079FC955
	v_cndmask_b32_e64 v33, v228, v230, s[78:79]                // 000000007D20: D1000021 013BCDE4
	v_and_or_b32 v80, v33, v229, v32                           // 000000007D28: D2010050 0483CB21
	v_cmp_u_f32_e64 s[78:79], v86, v86                         // 000000007D30: D048004E 0002AD56
	v_bfe_u32 v228, v86, 16, 1                                 // 000000007D38: D1C800E4 02052156
	v_add3_u32 v228, v86, v228, v231                           // 000000007D40: D1FF00E4 079FC956
	v_cndmask_b32_e64 v32, v228, v230, s[78:79]                // 000000007D48: D1000020 013BCDE4
	v_lshrrev_b32_e32 v32, 16, v32                             // 000000007D50: 20404090
	v_cmp_u_f32_e64 s[78:79], v87, v87                         // 000000007D54: D048004E 0002AF57
	v_bfe_u32 v228, v87, 16, 1                                 // 000000007D5C: D1C800E4 02052157
	v_add3_u32 v228, v87, v228, v231                           // 000000007D64: D1FF00E4 079FC957
	v_cndmask_b32_e64 v33, v228, v230, s[78:79]                // 000000007D6C: D1000021 013BCDE4
	v_and_or_b32 v81, v33, v229, v32                           // 000000007D74: D2010051 0483CB21
	v_mfma_f32_16x16x16_bf16 v[200:203], v[126:127], v[166:167], v[200:203]// 000000007D7C: D3E100C8 07234D7E
	v_mov_b32_dpp v18, v76 quad_perm:[1,0,3,2] row_mask:0xf bank_mask:0xf// 000000007D84: 7E2402FA FF00B14C
	v_perm_b32 v52, v18, v76, v17                              // 000000007D8C: D1ED0034 04469912
	v_mov_b32_dpp v18, v77 quad_perm:[1,0,3,2] row_mask:0xf bank_mask:0xf// 000000007D94: 7E2402FA FF00B14D
	v_perm_b32 v53, v18, v77, v17                              // 000000007D9C: D1ED0035 04469B12
	v_mov_b32_dpp v18, v78 quad_perm:[1,0,3,2] row_mask:0xf bank_mask:0xf// 000000007DA4: 7E2402FA FF00B14E
	v_perm_b32 v54, v18, v78, v17                              // 000000007DAC: D1ED0036 04469D12
	v_mfma_f32_16x16x16_bf16 v[204:207], v[128:129], v[166:167], v[204:207]// 000000007DB4: D3E100CC 07334D80
	v_mov_b32_dpp v18, v79 quad_perm:[1,0,3,2] row_mask:0xf bank_mask:0xf// 000000007DBC: 7E2402FA FF00B14F
	v_perm_b32 v55, v18, v79, v17                              // 000000007DC4: D1ED0037 04469F12
	v_mov_b32_dpp v18, v80 quad_perm:[1,0,3,2] row_mask:0xf bank_mask:0xf// 000000007DCC: 7E2402FA FF00B150
	v_perm_b32 v56, v18, v80, v17                              // 000000007DD4: D1ED0038 0446A112
	v_mov_b32_dpp v18, v81 quad_perm:[1,0,3,2] row_mask:0xf bank_mask:0xf// 000000007DDC: 7E2402FA FF00B151
	v_perm_b32 v57, v18, v81, v17                              // 000000007DE4: D1ED0039 0446A312
	v_mfma_f32_16x16x16_bf16 v[208:211], v[130:131], v[166:167], v[208:211]// 000000007DEC: D3E100D0 07434D82
	ds_write_b32 v20, v52 offset:17408                         // 000000007DF4: D81A4400 00003414
	ds_write_b32 v20, v53 offset:17952                         // 000000007DFC: D81A4620 00003514
	v_mfma_f32_16x16x16_bf16 v[212:215], v[124:125], v[168:169], v[212:215]// 000000007E04: D3E100D4 0753517C
	v_subrev_f32_dpp v88, v177, v88 quad_perm:[0,0,0,0] row_mask:0xf bank_mask:0xf// 000000007E0C: 06B0B0FA FF0000B1
	v_subrev_f32_dpp v89, v177, v89 quad_perm:[1,1,1,1] row_mask:0xf bank_mask:0xf// 000000007E14: 06B2B2FA FF0055B1
	v_subrev_f32_dpp v90, v177, v90 quad_perm:[2,2,2,2] row_mask:0xf bank_mask:0xf// 000000007E1C: 06B4B4FA FF00AAB1
	v_subrev_f32_dpp v91, v177, v91 quad_perm:[3,3,3,3] row_mask:0xf bank_mask:0xf// 000000007E24: 06B6B6FA FF00FFB1
	v_subrev_f32_dpp v92, v177, v92 quad_perm:[0,0,0,0] row_mask:0xf bank_mask:0xf// 000000007E2C: 06B8B8FA FF0000B1
	v_subrev_f32_dpp v93, v177, v93 quad_perm:[1,1,1,1] row_mask:0xf bank_mask:0xf// 000000007E34: 06BABAFA FF0055B1
	v_mfma_f32_16x16x16_bf16 v[216:219], v[126:127], v[168:169], v[216:219]// 000000007E3C: D3E100D8 0763517E
	ds_write_b32 v20, v54 offset:19712                         // 000000007E44: D81A4D00 00003614
	ds_write_b32 v20, v55 offset:20256                         // 000000007E4C: D81A4F20 00003714
	v_mfma_f32_16x16x16_bf16 v[220:223], v[128:129], v[168:169], v[220:223]// 000000007E54: D3E100DC 07735180
	v_subrev_f32_dpp v94, v177, v94 quad_perm:[2,2,2,2] row_mask:0xf bank_mask:0xf// 000000007E5C: 06BCBCFA FF00AAB1
	v_subrev_f32_dpp v95, v177, v95 quad_perm:[3,3,3,3] row_mask:0xf bank_mask:0xf// 000000007E64: 06BEBEFA FF00FFB1
	v_subrev_f32_dpp v96, v177, v96 quad_perm:[0,0,0,0] row_mask:0xf bank_mask:0xf// 000000007E6C: 06C0C0FA FF0000B1
	v_subrev_f32_dpp v97, v177, v97 quad_perm:[1,1,1,1] row_mask:0xf bank_mask:0xf// 000000007E74: 06C2C2FA FF0055B1
	v_subrev_f32_dpp v98, v177, v98 quad_perm:[2,2,2,2] row_mask:0xf bank_mask:0xf// 000000007E7C: 06C4C4FA FF00AAB1
	v_subrev_f32_dpp v99, v177, v99 quad_perm:[3,3,3,3] row_mask:0xf bank_mask:0xf// 000000007E84: 06C6C6FA FF00FFB1
	v_mfma_f32_16x16x16_bf16 v[224:227], v[130:131], v[168:169], v[224:227]// 000000007E8C: D3E100E0 07835182
	ds_write_b32 v20, v56 offset:22016                         // 000000007E94: D81A5600 00003814
	ds_write_b32 v20, v57 offset:22560                         // 000000007E9C: D81A5820 00003914
	v_mfma_f32_16x16x16_bf16 v[180:183], v[132:133], v[170:171], v[180:183]// 000000007EA4: D3E100B4 06D35584
	v_mul_f32_e32 v88, v64, v88                                // 000000007EAC: 0AB0B140
	v_mul_f32_e32 v89, v65, v89                                // 000000007EB0: 0AB2B341
	v_mul_f32_e32 v90, v66, v90                                // 000000007EB4: 0AB4B542
	v_mul_f32_e32 v91, v67, v91                                // 000000007EB8: 0AB6B743
	v_mul_f32_e32 v92, v68, v92                                // 000000007EBC: 0AB8B944
	v_mul_f32_e32 v93, v69, v93                                // 000000007EC0: 0ABABB45
	v_mfma_f32_16x16x16_bf16 v[184:187], v[134:135], v[170:171], v[184:187]// 000000007EC4: D3E100B8 06E35586
	v_mul_f32_e32 v94, v70, v94                                // 000000007ECC: 0ABCBD46
	v_mul_f32_e32 v95, v71, v95                                // 000000007ED0: 0ABEBF47
	v_mul_f32_e32 v96, v72, v96                                // 000000007ED4: 0AC0C148
	v_mul_f32_e32 v97, v73, v97                                // 000000007ED8: 0AC2C349
	v_mul_f32_e32 v98, v74, v98                                // 000000007EDC: 0AC4C54A
	v_mul_f32_e32 v99, v75, v99                                // 000000007EE0: 0AC6C74B
	v_mfma_f32_16x16x16_bf16 v[188:191], v[136:137], v[170:171], v[188:191]// 000000007EE4: D3E100BC 06F35588
	v_cmp_u_f32_e64 s[78:79], v88, v88                         // 000000007EEC: D048004E 0002B158
	v_bfe_u32 v228, v88, 16, 1                                 // 000000007EF4: D1C800E4 02052158
	v_add3_u32 v228, v88, v228, v231                           // 000000007EFC: D1FF00E4 079FC958
	v_cndmask_b32_e64 v32, v228, v230, s[78:79]                // 000000007F04: D1000020 013BCDE4
	v_lshrrev_b32_e32 v32, 16, v32                             // 000000007F0C: 20404090
	v_cmp_u_f32_e64 s[78:79], v89, v89                         // 000000007F10: D048004E 0002B359
	v_bfe_u32 v228, v89, 16, 1                                 // 000000007F18: D1C800E4 02052159
	v_add3_u32 v228, v89, v228, v231                           // 000000007F20: D1FF00E4 079FC959
	v_cndmask_b32_e64 v33, v228, v230, s[78:79]                // 000000007F28: D1000021 013BCDE4
	v_and_or_b32 v82, v33, v229, v32                           // 000000007F30: D2010052 0483CB21
	v_cmp_u_f32_e64 s[78:79], v90, v90                         // 000000007F38: D048004E 0002B55A
	v_bfe_u32 v228, v90, 16, 1                                 // 000000007F40: D1C800E4 0205215A
	v_add3_u32 v228, v90, v228, v231                           // 000000007F48: D1FF00E4 079FC95A
	v_cndmask_b32_e64 v32, v228, v230, s[78:79]                // 000000007F50: D1000020 013BCDE4
	v_lshrrev_b32_e32 v32, 16, v32                             // 000000007F58: 20404090
	v_cmp_u_f32_e64 s[78:79], v91, v91                         // 000000007F5C: D048004E 0002B75B
	v_bfe_u32 v228, v91, 16, 1                                 // 000000007F64: D1C800E4 0205215B
	v_add3_u32 v228, v91, v228, v231                           // 000000007F6C: D1FF00E4 079FC95B
	v_cndmask_b32_e64 v33, v228, v230, s[78:79]                // 000000007F74: D1000021 013BCDE4
	v_and_or_b32 v83, v33, v229, v32                           // 000000007F7C: D2010053 0483CB21
	v_cmp_u_f32_e64 s[78:79], v92, v92                         // 000000007F84: D048004E 0002B95C
	v_bfe_u32 v228, v92, 16, 1                                 // 000000007F8C: D1C800E4 0205215C
	v_add3_u32 v228, v92, v228, v231                           // 000000007F94: D1FF00E4 079FC95C
	v_cndmask_b32_e64 v32, v228, v230, s[78:79]                // 000000007F9C: D1000020 013BCDE4
	v_lshrrev_b32_e32 v32, 16, v32                             // 000000007FA4: 20404090
	v_cmp_u_f32_e64 s[78:79], v93, v93                         // 000000007FA8: D048004E 0002BB5D
	v_bfe_u32 v228, v93, 16, 1                                 // 000000007FB0: D1C800E4 0205215D
	v_add3_u32 v228, v93, v228, v231                           // 000000007FB8: D1FF00E4 079FC95D
	v_cndmask_b32_e64 v33, v228, v230, s[78:79]                // 000000007FC0: D1000021 013BCDE4
	v_and_or_b32 v84, v33, v229, v32                           // 000000007FC8: D2010054 0483CB21
	v_cmp_u_f32_e64 s[78:79], v94, v94                         // 000000007FD0: D048004E 0002BD5E
	v_bfe_u32 v228, v94, 16, 1                                 // 000000007FD8: D1C800E4 0205215E
	v_add3_u32 v228, v94, v228, v231                           // 000000007FE0: D1FF00E4 079FC95E
	v_cndmask_b32_e64 v32, v228, v230, s[78:79]                // 000000007FE8: D1000020 013BCDE4
	v_lshrrev_b32_e32 v32, 16, v32                             // 000000007FF0: 20404090
	v_cmp_u_f32_e64 s[78:79], v95, v95                         // 000000007FF4: D048004E 0002BF5F
	v_bfe_u32 v228, v95, 16, 1                                 // 000000007FFC: D1C800E4 0205215F
	v_add3_u32 v228, v95, v228, v231                           // 000000008004: D1FF00E4 079FC95F
	v_cndmask_b32_e64 v33, v228, v230, s[78:79]                // 00000000800C: D1000021 013BCDE4
	v_and_or_b32 v85, v33, v229, v32                           // 000000008014: D2010055 0483CB21
	v_cmp_u_f32_e64 s[78:79], v96, v96                         // 00000000801C: D048004E 0002C160
	v_bfe_u32 v228, v96, 16, 1                                 // 000000008024: D1C800E4 02052160
	v_add3_u32 v228, v96, v228, v231                           // 00000000802C: D1FF00E4 079FC960
	v_cndmask_b32_e64 v32, v228, v230, s[78:79]                // 000000008034: D1000020 013BCDE4
	v_lshrrev_b32_e32 v32, 16, v32                             // 00000000803C: 20404090
	v_cmp_u_f32_e64 s[78:79], v97, v97                         // 000000008040: D048004E 0002C361
	v_bfe_u32 v228, v97, 16, 1                                 // 000000008048: D1C800E4 02052161
	v_add3_u32 v228, v97, v228, v231                           // 000000008050: D1FF00E4 079FC961
	v_cndmask_b32_e64 v33, v228, v230, s[78:79]                // 000000008058: D1000021 013BCDE4
	v_and_or_b32 v86, v33, v229, v32                           // 000000008060: D2010056 0483CB21
	v_cmp_u_f32_e64 s[78:79], v98, v98                         // 000000008068: D048004E 0002C562
	v_bfe_u32 v228, v98, 16, 1                                 // 000000008070: D1C800E4 02052162
	v_add3_u32 v228, v98, v228, v231                           // 000000008078: D1FF00E4 079FC962
	v_cndmask_b32_e64 v32, v228, v230, s[78:79]                // 000000008080: D1000020 013BCDE4
	v_lshrrev_b32_e32 v32, 16, v32                             // 000000008088: 20404090
	v_cmp_u_f32_e64 s[78:79], v99, v99                         // 00000000808C: D048004E 0002C763
	v_bfe_u32 v228, v99, 16, 1                                 // 000000008094: D1C800E4 02052163
	v_add3_u32 v228, v99, v228, v231                           // 00000000809C: D1FF00E4 079FC963
	v_cndmask_b32_e64 v33, v228, v230, s[78:79]                // 0000000080A4: D1000021 013BCDE4
	v_and_or_b32 v87, v33, v229, v32                           // 0000000080AC: D2010057 0483CB21
	v_mfma_f32_16x16x16_bf16 v[192:195], v[138:139], v[170:171], v[192:195]// 0000000080B4: D3E100C0 0703558A
	v_mov_b32_dpp v18, v82 quad_perm:[1,0,3,2] row_mask:0xf bank_mask:0xf// 0000000080BC: 7E2402FA FF00B152
	v_perm_b32 v58, v18, v82, v17                              // 0000000080C4: D1ED003A 0446A512
	v_mov_b32_dpp v18, v83 quad_perm:[1,0,3,2] row_mask:0xf bank_mask:0xf// 0000000080CC: 7E2402FA FF00B153
	v_perm_b32 v59, v18, v83, v17                              // 0000000080D4: D1ED003B 0446A712
	v_mov_b32_dpp v18, v84 quad_perm:[1,0,3,2] row_mask:0xf bank_mask:0xf// 0000000080DC: 7E2402FA FF00B154
	v_perm_b32 v60, v18, v84, v17                              // 0000000080E4: D1ED003C 0446A912
	v_mfma_f32_16x16x16_bf16 v[196:199], v[132:133], v[172:173], v[196:199]// 0000000080EC: D3E100C4 07135984
	v_mov_b32_dpp v18, v85 quad_perm:[1,0,3,2] row_mask:0xf bank_mask:0xf// 0000000080F4: 7E2402FA FF00B155
	v_perm_b32 v61, v18, v85, v17                              // 0000000080FC: D1ED003D 0446AB12
	v_mov_b32_dpp v18, v86 quad_perm:[1,0,3,2] row_mask:0xf bank_mask:0xf// 000000008104: 7E2402FA FF00B156
	v_perm_b32 v62, v18, v86, v17                              // 00000000810C: D1ED003E 0446AD12
	v_mov_b32_dpp v18, v87 quad_perm:[1,0,3,2] row_mask:0xf bank_mask:0xf// 000000008114: 7E2402FA FF00B157
	v_perm_b32 v63, v18, v87, v17                              // 00000000811C: D1ED003F 0446AF12
	v_mfma_f32_16x16x16_bf16 v[200:203], v[134:135], v[172:173], v[200:203]// 000000008124: D3E100C8 07235986
	ds_write_b32 v20, v58 offset:24320                         // 00000000812C: D81A5F00 00003A14
	ds_write_b32 v20, v59 offset:24864                         // 000000008134: D81A6120 00003B14
	v_mfma_f32_16x16x16_bf16 v[204:207], v[136:137], v[172:173], v[204:207]// 00000000813C: D3E100CC 07335988
	v_mfma_f32_16x16x16_bf16 v[208:211], v[138:139], v[172:173], v[208:211]// 000000008144: D3E100D0 0743598A
	ds_write_b32 v20, v60 offset:26624                         // 00000000814C: D81A6800 00003C14
	ds_write_b32 v20, v61 offset:27168                         // 000000008154: D81A6A20 00003D14
	ds_write_b32 v20, v62 offset:28928                         // 00000000815C: D81A7100 00003E14
	ds_write_b32 v20, v63 offset:29472                         // 000000008164: D81A7320 00003F14
	v_mfma_f32_16x16x16_bf16 v[212:215], v[132:133], v[174:175], v[212:215]// 00000000816C: D3E100D4 07535D84
	v_mfma_f32_16x16x16_bf16 v[216:219], v[134:135], v[174:175], v[216:219]// 000000008174: D3E100D8 07635D86
	ds_write_b32 v15, v100 offset:4352                         // 00000000817C: D81A1100 0000640F
	ds_write_b32 v15, v101 offset:5408                         // 000000008184: D81A1520 0000650F
	v_mfma_f32_16x16x16_bf16 v[220:223], v[136:137], v[174:175], v[220:223]// 00000000818C: D3E100DC 07735D88
	s_nop 0                                                    // 000000008194: BF800000
	s_nop 0                                                    // 000000008198: BF800000
	s_nop 0                                                    // 00000000819C: BF800000
	v_mfma_f32_16x16x16_bf16 v[224:227], v[138:139], v[174:175], v[224:227]// 0000000081A0: D3E100E0 07835D8A
	ds_write_b32 v15, v102 offset:6528                         // 0000000081A8: D81A1980 0000660F
	ds_write_b32 v15, v103 offset:7584                         // 0000000081B0: D81A1DA0 0000670F
	s_barrier                                                  // 0000000081B8: BF8A0000
	v_mfma_f32_16x16x16_bf16 a[112:115], a[96:97], v[76:77], a[112:115]// 0000000081BC: D3E18070 0DC29960
	buffer_atomic_add_f32 v156, v6, s[32:35], 0 idxen          // 0000000081C4: E1342000 80089C06
	v_mfma_f32_16x16x16_bf16 a[116:119], a[98:99], v[76:77], a[116:119]// 0000000081CC: D3E18074 0DD29962
	ds_read_b32 v140, v23 offset:39424                         // 0000000081D4: D86C9A00 8C000017
	ds_read_b32 v144, v23 offset:39488                         // 0000000081DC: D86C9A40 90000017
	ds_read_b32 v176, v23 offset:39680                         // 0000000081E4: D86C9B00 B0000017
	ds_read_b32 v177, v23 offset:39744                         // 0000000081EC: D86C9B40 B1000017
	v_mfma_f32_16x16x16_bf16 a[120:123], a[100:101], v[76:77], a[120:123]// 0000000081F4: D3E18078 0DE29964
	s_waitcnt lgkmcnt(8)                                       // 0000000081FC: BF8CC87F
	s_barrier                                                  // 000000008200: BF8A0000
	v_mfma_f32_16x16x16_bf16 a[124:127], a[102:103], v[76:77], a[124:127]// 000000008204: D3E1807C 0DF29966
	ds_read_b128 v[52:55], v19 offset:17408                    // 00000000820C: D9FE4400 34000013
	v_mfma_f32_16x16x16_bf16 a[128:131], a[96:97], v[78:79], a[128:131]// 000000008214: D3E18080 0E029D60
	v_mfma_f32_16x16x16_bf16 a[132:135], a[98:99], v[78:79], a[132:135]// 00000000821C: D3E18084 0E129D62
	ds_read_b128 v[56:59], v19 offset:18560                    // 000000008224: D9FE4880 38000013
	v_mfma_f32_16x16x16_bf16 a[136:139], a[100:101], v[78:79], a[136:139]// 00000000822C: D3E18088 0E229D64
	buffer_atomic_add_f32 v157, v7, s[32:35], 0 idxen          // 000000008234: E1342000 80089D07
	v_mfma_f32_16x16x16_bf16 a[140:143], a[102:103], v[78:79], a[140:143]// 00000000823C: D3E1808C 0E329D66
	ds_read_b128 v[60:63], v19 offset:19712                    // 000000008244: D9FE4D00 3C000013
	v_mfma_f32_16x16x16_bf16 a[144:147], a[96:97], v[80:81], a[144:147]// 00000000824C: D3E18090 0E42A160
	v_mfma_f32_16x16x16_bf16 a[148:151], a[98:99], v[80:81], a[148:151]// 000000008254: D3E18094 0E52A162
	ds_read_b128 v[64:67], v19 offset:20864                    // 00000000825C: D9FE5180 40000013
	v_mfma_f32_16x16x16_bf16 a[152:155], a[100:101], v[80:81], a[152:155]// 000000008264: D3E18098 0E62A164
	v_mfma_f32_16x16x16_bf16 a[156:159], a[102:103], v[80:81], a[156:159]// 00000000826C: D3E1809C 0E72A166
	ds_read_b128 v[68:71], v19 offset:22016                    // 000000008274: D9FE5600 44000013
	v_mfma_f32_16x16x16_bf16 a[112:115], a[104:105], v[82:83], a[112:115]// 00000000827C: D3E18070 0DC2A568
	buffer_atomic_add_f32 v158, v6, s[32:35], 0 idxen offset:128// 000000008284: E1342080 80089E06
	v_mfma_f32_16x16x16_bf16 a[116:119], a[106:107], v[82:83], a[116:119]// 00000000828C: D3E18074 0DD2A56A
	ds_read_b128 v[72:75], v19 offset:23168                    // 000000008294: D9FE5A80 48000013
	v_mfma_f32_16x16x16_bf16 a[120:123], a[108:109], v[82:83], a[120:123]// 00000000829C: D3E18078 0DE2A56C
	v_mfma_f32_16x16x16_bf16 a[124:127], a[110:111], v[82:83], a[124:127]// 0000000082A4: D3E1807C 0DF2A56E
	ds_write_b32 v15, v104 offset:13056                        // 0000000082AC: D81A3300 0000680F
	v_mfma_f32_16x16x16_bf16 a[128:131], a[104:105], v[84:85], a[128:131]// 0000000082B4: D3E18080 0E02A968
	v_mfma_f32_16x16x16_bf16 a[132:135], a[106:107], v[84:85], a[132:135]// 0000000082BC: D3E18084 0E12A96A
	ds_write_b32 v15, v105 offset:14112                        // 0000000082C4: D81A3720 0000690F
	v_mfma_f32_16x16x16_bf16 a[136:139], a[108:109], v[84:85], a[136:139]// 0000000082CC: D3E18088 0E22A96C
	buffer_atomic_add_f32 v159, v7, s[32:35], 0 idxen offset:128// 0000000082D4: E1342080 80089F07
	v_mfma_f32_16x16x16_bf16 a[140:143], a[110:111], v[84:85], a[140:143]// 0000000082DC: D3E1808C 0E32A96E
	ds_write_b32 v15, v106 offset:15232                        // 0000000082E4: D81A3B80 00006A0F
	v_mfma_f32_16x16x16_bf16 a[144:147], a[104:105], v[86:87], a[144:147]// 0000000082EC: D3E18090 0E42AD68
	v_mfma_f32_16x16x16_bf16 a[148:151], a[106:107], v[86:87], a[148:151]// 0000000082F4: D3E18094 0E52AD6A
	ds_write_b32 v15, v107 offset:16288                        // 0000000082FC: D81A3FA0 00006B0F
	v_mfma_f32_16x16x16_bf16 a[152:155], a[108:109], v[86:87], a[152:155]// 000000008304: D3E18098 0E62AD6C
	v_mfma_f32_16x16x16_bf16 a[156:159], a[110:111], v[86:87], a[156:159]// 00000000830C: D3E1809C 0E72AD6E
	s_waitcnt vmcnt(8) lgkmcnt(4)                              // 000000008314: BF8C0478
	s_barrier                                                  // 000000008318: BF8A0000
	v_mfma_f32_16x16x16_bf16 v[148:151], v[52:53], a[24:25], 0 // 00000000831C: D3E10094 12023134
	v_mul_f32_e32 v140, s48, v140                              // 000000008324: 0B191830
	v_mul_f32_e32 v144, s48, v144                              // 000000008328: 0B212030
	s_nop 0                                                    // 00000000832C: BF800000
	v_mfma_f32_16x16x16_bf16 v[148:151], v[54:55], a[28:29], v[148:151]// 000000008330: D3E10094 16523936
	ds_read_b128 a[96:99], v12                                 // 000000008338: DBFE0000 6000000C
	buffer_load_dword v36, v1, s[8:11], 0 idxen                // 000000008340: E0502000 80022401
	v_mfma_f32_16x16x16_bf16 v[148:151], v[56:57], a[32:33], v[148:151]// 000000008348: D3E10094 16524138
	v_mfma_f32_16x16x16_bf16 v[148:151], v[58:59], a[36:37], v[148:151]// 000000008350: D3E10094 1652493A
	ds_read_b128 a[100:103], v12 offset:512                    // 000000008358: DBFE0200 6400000C
	buffer_load_dword v37, v2, s[8:11], 0 idxen                // 000000008360: E0502000 80022502
	v_mfma_f32_16x16x16_bf16 v[148:151], v[60:61], a[40:41], v[148:151]// 000000008368: D3E10094 1652513C
	v_perm_b32 v100, v41, v40, s63                             // 000000008370: D1ED0064 00FE5129
	v_perm_b32 v101, v41, v40, s64                             // 000000008378: D1ED0065 01025129
	v_mfma_f32_16x16x16_bf16 v[148:151], v[62:63], a[44:45], v[148:151]// 000000008380: D3E10094 1652593E
	ds_read_b128 a[104:107], v12 offset:2176                   // 000000008388: DBFE0880 6800000C
	buffer_load_dword v38, v3, s[8:11], 0 idxen                // 000000008390: E0502000 80022603
	v_mfma_f32_16x16x16_bf16 v[148:151], v[64:65], a[48:49], v[148:151]// 000000008398: D3E10094 16526140
	v_perm_b32 v102, v43, v42, s63                             // 0000000083A0: D1ED0066 00FE552B
	v_perm_b32 v103, v43, v42, s64                             // 0000000083A8: D1ED0067 0102552B
	v_mfma_f32_16x16x16_bf16 v[148:151], v[66:67], a[52:53], v[148:151]// 0000000083B0: D3E10094 16526942
	ds_read_b128 a[108:111], v12 offset:2688                   // 0000000083B8: DBFE0A80 6C00000C
	buffer_load_dword v39, v4, s[8:11], 0 idxen                // 0000000083C0: E0502000 80022704
	v_mfma_f32_16x16x16_bf16 v[148:151], v[68:69], a[56:57], v[148:151]// 0000000083C8: D3E10094 16527144
	v_perm_b32 v104, v49, v48, s63                             // 0000000083D0: D1ED0068 00FE6131
	v_perm_b32 v105, v49, v48, s64                             // 0000000083D8: D1ED0069 01026131
	v_mfma_f32_16x16x16_bf16 v[148:151], v[70:71], a[60:61], v[148:151]// 0000000083E0: D3E10094 16527946
	ds_read_b128 v[108:111], v12 offset:8704                   // 0000000083E8: D9FE2200 6C00000C
	buffer_load_dword v44, v232, s[20:23], 0 idxen             // 0000000083F0: E0502000 80052CE8
	v_mfma_f32_16x16x16_bf16 v[148:151], v[72:73], a[64:65], v[148:151]// 0000000083F8: D3E10094 16528148
	v_perm_b32 v106, v51, v50, s63                             // 000000008400: D1ED006A 00FE6533
	v_perm_b32 v107, v51, v50, s64                             // 000000008408: D1ED006B 01026533
	v_mfma_f32_16x16x16_bf16 v[148:151], v[74:75], a[68:69], v[148:151]// 000000008410: D3E10094 1652894A
	ds_read_b128 v[112:115], v12 offset:9216                   // 000000008418: D9FE2400 7000000C
	buffer_load_dword v45, v233, s[20:23], 0 idxen             // 000000008420: E0502000 80052DE9
	v_mfma_f32_16x16x16_bf16 v[152:155], v[52:53], a[26:27], 0 // 000000008428: D3E10098 12023534
	v_mov_b32_dpp v143, v140 quad_perm:[3,3,3,3] row_mask:0xf bank_mask:0xf// 000000008430: 7F1E02FA FF00FF8C
	v_mov_b32_dpp v142, v140 quad_perm:[2,2,2,2] row_mask:0xf bank_mask:0xf// 000000008438: 7F1C02FA FF00AA8C
	v_mov_b32_dpp v141, v140 quad_perm:[1,1,1,1] row_mask:0xf bank_mask:0xf// 000000008440: 7F1A02FA FF00558C
	v_mov_b32_dpp v140, v140 quad_perm:[0,0,0,0] row_mask:0xf bank_mask:0xf// 000000008448: 7F1802FA FF00008C
	v_mfma_f32_16x16x16_bf16 v[152:155], v[54:55], a[30:31], v[152:155]// 000000008450: D3E10098 16623D36
	ds_read_b128 v[116:119], v12 offset:10880                  // 000000008458: D9FE2A80 7400000C
	buffer_load_dword v46, v234, s[20:23], 0 idxen             // 000000008460: E0502000 80052EEA
	v_mfma_f32_16x16x16_bf16 v[152:155], v[56:57], a[34:35], v[152:155]// 000000008468: D3E10098 16624538
	v_mov_b32_dpp v147, v144 quad_perm:[3,3,3,3] row_mask:0xf bank_mask:0xf// 000000008470: 7F2602FA FF00FF90
	v_mov_b32_dpp v146, v144 quad_perm:[2,2,2,2] row_mask:0xf bank_mask:0xf// 000000008478: 7F2402FA FF00AA90
	v_mov_b32_dpp v145, v144 quad_perm:[1,1,1,1] row_mask:0xf bank_mask:0xf// 000000008480: 7F2202FA FF005590
	v_mov_b32_dpp v144, v144 quad_perm:[0,0,0,0] row_mask:0xf bank_mask:0xf// 000000008488: 7F2002FA FF000090
	s_add_u32 s60, 0x80, s59                                   // 000000008490: 803C3BFF 00000080
	v_mfma_f32_16x16x16_bf16 v[152:155], v[58:59], a[38:39], v[152:155]// 000000008498: D3E10098 16624D3A
	ds_read_b128 v[120:123], v12 offset:11392                  // 0000000084A0: D9FE2C80 7800000C
	buffer_load_dword v47, v235, s[20:23], 0 idxen             // 0000000084A8: E0502000 80052FEB
	v_mfma_f32_16x16x16_bf16 v[152:155], v[60:61], a[42:43], v[152:155]// 0000000084B0: D3E10098 1662553C
	s_cmp_lt_u32 s60, s58                                      // 0000000084B8: BF0A3A3C
	s_cselect_b32 s68, s68, 0                                  // 0000000084BC: 85448044
	s_cselect_b32 s99, s99, 0                                  // 0000000084C0: 85638063
	s_cselect_b32 s69, s69, 0                                  // 0000000084C4: 85458045
	v_mfma_f32_16x16x16_bf16 v[152:155], v[62:63], a[46:47], v[152:155]// 0000000084C8: D3E10098 16625D3E
	buffer_load_dword v11, s[24:27], 0 idxen lds               // 0000000084D0: E0512000 8006000B
	v_mfma_f32_16x16x16_bf16 v[152:155], v[64:65], a[50:51], v[152:155]// 0000000084D8: D3E10098 16626540
	v_add_u32_e32 v1, s68, v1                                  // 0000000084E0: 68020244
	v_add_u32_e32 v2, s68, v2                                  // 0000000084E4: 68040444
	v_add_u32_e32 v3, s68, v3                                  // 0000000084E8: 68060644
	v_add_u32_e32 v4, s68, v4                                  // 0000000084EC: 68080844
	v_mfma_f32_16x16x16_bf16 v[152:155], v[66:67], a[54:55], v[152:155]// 0000000084F0: D3E10098 16626D42
	v_add_u32_e32 v232, s99, v232                              // 0000000084F8: 69D1D063
	v_add_u32_e32 v233, s99, v233                              // 0000000084FC: 69D3D263
	v_add_u32_e32 v234, s99, v234                              // 000000008500: 69D5D463
	v_add_u32_e32 v235, s99, v235                              // 000000008504: 69D7D663
	v_mfma_f32_16x16x16_bf16 v[152:155], v[68:69], a[58:59], v[152:155]// 000000008508: D3E10098 16627544
	s_mov_b32 m0, s81                                          // 000000008510: BEFC0051
	v_add_u32_e32 v11, s69, v11                                // 000000008514: 68161645
	v_mfma_f32_16x16x16_bf16 v[152:155], v[70:71], a[62:63], v[152:155]// 000000008518: D3E10098 16627D46
	s_cmp_ge_u32 s59, s73                                      // 000000008520: BF09493B
	s_cselect_b32 s66, s67, s66                                // 000000008524: 85424243
	v_mfma_f32_16x16x16_bf16 v[152:155], v[72:73], a[66:67], v[152:155]// 000000008528: D3E10098 16628548
	s_addk_i32 s59, 0x20                                       // 000000008530: B73B0020
	s_nop 0                                                    // 000000008534: BF800000
	s_cmp_lt_i32 s59, s58                                      // 000000008538: BF043A3B
	v_mfma_f32_16x16x16_bf16 v[152:155], v[74:75], a[70:71], v[152:155]// 00000000853C: D3E10098 16628D4A
	s_cbranch_scc0 label_11E5                                  // 000000008544: BF840001
	s_branch label_064E                                        // 000000008548: BF82F47B

000000000000854c <label_11E5>:
	s_nop 0                                                    // 00000000854C: BF800000
	s_nop 0                                                    // 000000008550: BF800000
	s_branch label_1D7F                                        // 000000008554: BF820B85

0000000000008558 <label_11E8>:
	s_waitcnt lgkmcnt(0)                                       // 000000008558: BF8CC07F
	s_barrier                                                  // 00000000855C: BF8A0000
	v_mfma_f32_16x16x16_bf16 v[52:55], a[96:97], a[0:1], 0     // 000000008560: D3E10034 1A020160
	v_mul_f32_e32 v148, s47, v148                              // 000000008568: 0B29282F
	v_mul_f32_e32 v149, s47, v149                              // 00000000856C: 0B2B2A2F
	v_mfma_f32_16x16x16_bf16 v[52:55], a[98:99], a[2:3], v[52:55]// 000000008570: D3E10034 1CD20562
	ds_write_b32 v13, v48 offset:8704                          // 000000008578: D81A2200 0000300D
	ds_write_b32 v13, v49 offset:9760                          // 000000008580: D81A2620 0000310D
	v_mfma_f32_16x16x16_bf16 v[52:55], a[100:101], a[4:5], v[52:55]// 000000008588: D3E10034 1CD20964
	v_mul_f32_e32 v150, s47, v150                              // 000000008590: 0B2D2C2F
	v_mul_f32_e32 v151, s47, v151                              // 000000008594: 0B2F2E2F
	v_mfma_f32_16x16x16_bf16 v[52:55], a[102:103], a[6:7], v[52:55]// 000000008598: D3E10034 1CD20D66
	ds_write_b32 v13, v50 offset:10880                         // 0000000085A0: D81A2A80 0000320D
	ds_write_b32 v13, v51 offset:11936                         // 0000000085A8: D81A2EA0 0000330D
	v_mfma_f32_16x16x16_bf16 v[56:59], a[96:97], a[8:9], 0     // 0000000085B0: D3E10038 1A021160
	v_mul_f32_e32 v152, s47, v152                              // 0000000085B8: 0B31302F
	v_mul_f32_e32 v153, s47, v153                              // 0000000085BC: 0B33322F
	v_mfma_f32_16x16x16_bf16 v[56:59], a[98:99], a[10:11], v[56:59]// 0000000085C0: D3E10038 1CE21562
	ds_write_b64 v22, v[148:149] offset:31232                  // 0000000085C8: D89A7A00 00009416
	v_mfma_f32_16x16x16_bf16 v[56:59], a[100:101], a[12:13], v[56:59]// 0000000085D0: D3E10038 1CE21964
	v_mul_f32_e32 v154, s47, v154                              // 0000000085D8: 0B35342F
	v_mul_f32_e32 v155, s47, v155                              // 0000000085DC: 0B37362F
	v_mfma_f32_16x16x16_bf16 v[56:59], a[102:103], a[14:15], v[56:59]// 0000000085E0: D3E10038 1CE21D66
	ds_write_b64 v22, v[150:151] offset:31744                  // 0000000085E8: D89A7C00 00009616
	v_mfma_f32_16x16x16_bf16 v[60:63], a[96:97], a[16:17], 0   // 0000000085F0: D3E1003C 1A022160
	buffer_atomic_add_f32 v160, v8, s[32:35], 0 idxen          // 0000000085F8: E1342000 8008A008
	v_mfma_f32_16x16x16_bf16 v[60:63], a[98:99], a[18:19], v[60:63]// 000000008600: D3E1003C 1CF22562
	ds_write_b64 v22, v[152:153] offset:32256                  // 000000008608: D89A7E00 00009816
	v_mfma_f32_16x16x16_bf16 v[60:63], a[100:101], a[20:21], v[60:63]// 000000008610: D3E1003C 1CF22964
	v_mfma_f32_16x16x16_bf16 v[60:63], a[102:103], a[22:23], v[60:63]// 000000008618: D3E1003C 1CF22D66
	ds_write_b64 v22, v[154:155] offset:32768                  // 000000008620: D89A8000 00009A16
	v_mfma_f32_16x16x16_bf16 v[64:67], a[104:105], a[0:1], 0   // 000000008628: D3E10040 1A020168
	buffer_atomic_add_f32 v161, v9, s[32:35], 0 idxen          // 000000008630: E1342000 8008A109
	v_mfma_f32_16x16x16_bf16 v[64:67], a[106:107], a[2:3], v[64:67]// 000000008638: D3E10040 1D02056A
	ds_read_b128 v[124:127], v14 offset:13056                  // 000000008640: D9FE3300 7C00000E
	ds_write_b32 v13, v40                                      // 000000008648: D81A0000 0000280D
	v_mfma_f32_16x16x16_bf16 v[64:67], a[108:109], a[4:5], v[64:67]// 000000008650: D3E10040 1D02096C
	v_mfma_f32_16x16x16_bf16 v[64:67], a[110:111], a[6:7], v[64:67]// 000000008658: D3E10040 1D020D6E
	v_mfma_f32_16x16x16_bf16 v[68:71], a[104:105], a[8:9], 0   // 000000008660: D3E10044 1A021168
	ds_read_b128 v[128:131], v14 offset:13568                  // 000000008668: D9FE3500 8000000E
	ds_write_b32 v13, v41 offset:1056                          // 000000008670: D81A0420 0000290D
	v_mfma_f32_16x16x16_bf16 v[68:71], a[106:107], a[10:11], v[68:71]// 000000008678: D3E10044 1D12156A
	buffer_atomic_add_f32 v162, v8, s[32:35], 0 idxen offset:128// 000000008680: E1342080 8008A208
	v_mfma_f32_16x16x16_bf16 v[68:71], a[108:109], a[12:13], v[68:71]// 000000008688: D3E10044 1D12196C
	v_mfma_f32_16x16x16_bf16 v[68:71], a[110:111], a[14:15], v[68:71]// 000000008690: D3E10044 1D121D6E
	ds_read_b128 v[132:135], v14 offset:15232                  // 000000008698: D9FE3B80 8400000E
	ds_write_b32 v13, v42 offset:2176                          // 0000000086A0: D81A0880 00002A0D
	v_mfma_f32_16x16x16_bf16 v[72:75], a[104:105], a[16:17], 0 // 0000000086A8: D3E10048 1A022168
	v_mfma_f32_16x16x16_bf16 v[72:75], a[106:107], a[18:19], v[72:75]// 0000000086B0: D3E10048 1D22256A
	buffer_atomic_add_f32 v163, v9, s[32:35], 0 idxen offset:128// 0000000086B8: E1342080 8008A309
	v_mfma_f32_16x16x16_bf16 v[72:75], a[108:109], a[20:21], v[72:75]// 0000000086C0: D3E10048 1D22296C
	ds_read_b128 v[136:139], v14 offset:15744                  // 0000000086C8: D9FE3D80 8800000E
	ds_write_b32 v13, v43 offset:3232                          // 0000000086D0: D81A0CA0 00002B0D
	v_mfma_f32_16x16x16_bf16 v[72:75], a[110:111], a[22:23], v[72:75]// 0000000086D8: D3E10048 1D222D6E
	s_cmp_lt_i32 s74, 12                                       // 0000000086E0: BF048C4A
	s_cbranch_scc0 label_1332                                  // 0000000086E4: BF8400E6
	s_mov_b32 s60, 0xffe0fffe                                  // 0000000086E8: BEBC00FF FFE0FFFE
	s_mov_b32 s61, 0xe000fe00                                  // 0000000086F0: BEBD00FF E000FE00
	s_nop 0                                                    // 0000000086F8: BF800000
	s_add_u32 s62, 0, s46                                      // 0000000086FC: 803E2E80
	s_cmp_lt_i32 s74, s62                                      // 000000008700: BF043E4A
	s_cbranch_scc1 label_127C                                  // 000000008704: BF850028
	s_cmp_eq_i32 s74, s62                                      // 000000008708: BF003E4A
	s_cbranch_scc1 label_1261                                  // 00000000870C: BF85000B
	s_add_u32 s62, 4, s46                                      // 000000008710: 803E2E84
	s_cmp_lt_i32 s74, s62                                      // 000000008714: BF043E4A
	s_cbranch_scc1 label_129C                                  // 000000008718: BF850043
	s_cmp_eq_i32 s74, s62                                      // 00000000871C: BF003E4A
	s_cbranch_scc1 label_1281                                  // 000000008720: BF850026
	s_add_u32 s62, 8, s46                                      // 000000008724: 803E2E88
	s_cmp_lt_i32 s74, s62                                      // 000000008728: BF043E4A
	s_cbranch_scc1 label_12BC                                  // 00000000872C: BF85005E
	s_cmp_eq_i32 s74, s62                                      // 000000008730: BF003E4A
	s_cbranch_scc1 label_12A1                                  // 000000008734: BF850041
	s_branch label_12C1                                        // 000000008738: BF820060

000000000000873c <label_1261>:
	v_cndmask_b32_e64 v52, v52, v178, s[60:61]                 // 00000000873C: D1000034 00F36534
	s_lshl_b32 s60, s60, 1                                     // 000000008744: 8E3C813C
	s_lshl_b32 s61, s61, 1                                     // 000000008748: 8E3D813D
	s_and_b32 s60, 0xfffeffff, s60                             // 00000000874C: 863C3CFF FFFEFFFF
	s_and_b32 s61, 0xfffeffff, s61                             // 000000008754: 863D3DFF FFFEFFFF
	v_cndmask_b32_e64 v53, v53, v178, s[60:61]                 // 00000000875C: D1000035 00F36535
	s_lshl_b32 s60, s60, 1                                     // 000000008764: 8E3C813C
	s_lshl_b32 s61, s61, 1                                     // 000000008768: 8E3D813D
	s_and_b32 s60, 0xfffeffff, s60                             // 00000000876C: 863C3CFF FFFEFFFF
	s_and_b32 s61, 0xfffeffff, s61                             // 000000008774: 863D3DFF FFFEFFFF
	v_cndmask_b32_e64 v54, v54, v178, s[60:61]                 // 00000000877C: D1000036 00F36536
	s_lshl_b32 s60, s60, 1                                     // 000000008784: 8E3C813C
	s_lshl_b32 s61, s61, 1                                     // 000000008788: 8E3D813D
	s_and_b32 s60, 0xfffeffff, s60                             // 00000000878C: 863C3CFF FFFEFFFF
	s_and_b32 s61, 0xfffeffff, s61                             // 000000008794: 863D3DFF FFFEFFFF
	v_cndmask_b32_e64 v55, v55, v178, s[60:61]                 // 00000000879C: D1000037 00F36537
	s_branch label_129C                                        // 0000000087A4: BF820020

00000000000087a8 <label_127C>:
	v_mov_b32_e32 v52, v178                                    // 0000000087A8: 7E6803B2
	v_mov_b32_e32 v53, v178                                    // 0000000087AC: 7E6A03B2
	v_mov_b32_e32 v54, v178                                    // 0000000087B0: 7E6C03B2
	v_mov_b32_e32 v55, v178                                    // 0000000087B4: 7E6E03B2
	s_branch label_129C                                        // 0000000087B8: BF82001B

00000000000087bc <label_1281>:
	v_cndmask_b32_e64 v56, v56, v178, s[60:61]                 // 0000000087BC: D1000038 00F36538
	s_lshl_b32 s60, s60, 1                                     // 0000000087C4: 8E3C813C
	s_lshl_b32 s61, s61, 1                                     // 0000000087C8: 8E3D813D
	s_and_b32 s60, 0xfffeffff, s60                             // 0000000087CC: 863C3CFF FFFEFFFF
	s_and_b32 s61, 0xfffeffff, s61                             // 0000000087D4: 863D3DFF FFFEFFFF
	v_cndmask_b32_e64 v57, v57, v178, s[60:61]                 // 0000000087DC: D1000039 00F36539
	s_lshl_b32 s60, s60, 1                                     // 0000000087E4: 8E3C813C
	s_lshl_b32 s61, s61, 1                                     // 0000000087E8: 8E3D813D
	s_and_b32 s60, 0xfffeffff, s60                             // 0000000087EC: 863C3CFF FFFEFFFF
	s_and_b32 s61, 0xfffeffff, s61                             // 0000000087F4: 863D3DFF FFFEFFFF
	v_cndmask_b32_e64 v58, v58, v178, s[60:61]                 // 0000000087FC: D100003A 00F3653A
	s_lshl_b32 s60, s60, 1                                     // 000000008804: 8E3C813C
	s_lshl_b32 s61, s61, 1                                     // 000000008808: 8E3D813D
	s_and_b32 s60, 0xfffeffff, s60                             // 00000000880C: 863C3CFF FFFEFFFF
	s_and_b32 s61, 0xfffeffff, s61                             // 000000008814: 863D3DFF FFFEFFFF
	v_cndmask_b32_e64 v59, v59, v178, s[60:61]                 // 00000000881C: D100003B 00F3653B
	s_branch label_12BC                                        // 000000008824: BF820020

0000000000008828 <label_129C>:
	v_mov_b32_e32 v56, v178                                    // 000000008828: 7E7003B2
	v_mov_b32_e32 v57, v178                                    // 00000000882C: 7E7203B2
	v_mov_b32_e32 v58, v178                                    // 000000008830: 7E7403B2
	v_mov_b32_e32 v59, v178                                    // 000000008834: 7E7603B2
	s_branch label_12BC                                        // 000000008838: BF82001B

000000000000883c <label_12A1>:
	v_cndmask_b32_e64 v60, v60, v178, s[60:61]                 // 00000000883C: D100003C 00F3653C
	s_lshl_b32 s60, s60, 1                                     // 000000008844: 8E3C813C
	s_lshl_b32 s61, s61, 1                                     // 000000008848: 8E3D813D
	s_and_b32 s60, 0xfffeffff, s60                             // 00000000884C: 863C3CFF FFFEFFFF
	s_and_b32 s61, 0xfffeffff, s61                             // 000000008854: 863D3DFF FFFEFFFF
	v_cndmask_b32_e64 v61, v61, v178, s[60:61]                 // 00000000885C: D100003D 00F3653D
	s_lshl_b32 s60, s60, 1                                     // 000000008864: 8E3C813C
	s_lshl_b32 s61, s61, 1                                     // 000000008868: 8E3D813D
	s_and_b32 s60, 0xfffeffff, s60                             // 00000000886C: 863C3CFF FFFEFFFF
	s_and_b32 s61, 0xfffeffff, s61                             // 000000008874: 863D3DFF FFFEFFFF
	v_cndmask_b32_e64 v62, v62, v178, s[60:61]                 // 00000000887C: D100003E 00F3653E
	s_lshl_b32 s60, s60, 1                                     // 000000008884: 8E3C813C
	s_lshl_b32 s61, s61, 1                                     // 000000008888: 8E3D813D
	s_and_b32 s60, 0xfffeffff, s60                             // 00000000888C: 863C3CFF FFFEFFFF
	s_and_b32 s61, 0xfffeffff, s61                             // 000000008894: 863D3DFF FFFEFFFF
	v_cndmask_b32_e64 v63, v63, v178, s[60:61]                 // 00000000889C: D100003F 00F3653F
	s_branch label_12C1                                        // 0000000088A4: BF820005

00000000000088a8 <label_12BC>:
	v_mov_b32_e32 v60, v178                                    // 0000000088A8: 7E7803B2
	v_mov_b32_e32 v61, v178                                    // 0000000088AC: 7E7A03B2
	v_mov_b32_e32 v62, v178                                    // 0000000088B0: 7E7C03B2
	v_mov_b32_e32 v63, v178                                    // 0000000088B4: 7E7E03B2
	s_branch label_12C1                                        // 0000000088B8: BF820000

00000000000088bc <label_12C1>:
	s_addk_i32 s74, 0x1                                        // 0000000088BC: B74A0001
	s_add_u32 s62, 0, s46                                      // 0000000088C0: 803E2E80
	s_cmp_lt_i32 s74, s62                                      // 0000000088C4: BF043E4A
	s_cbranch_scc1 label_12ED                                  // 0000000088C8: BF850028
	s_cmp_eq_i32 s74, s62                                      // 0000000088CC: BF003E4A
	s_cbranch_scc1 label_12D2                                  // 0000000088D0: BF85000B
	s_add_u32 s62, 4, s46                                      // 0000000088D4: 803E2E84
	s_cmp_lt_i32 s74, s62                                      // 0000000088D8: BF043E4A
	s_cbranch_scc1 label_130D                                  // 0000000088DC: BF850043
	s_cmp_eq_i32 s74, s62                                      // 0000000088E0: BF003E4A
	s_cbranch_scc1 label_12F2                                  // 0000000088E4: BF850026
	s_add_u32 s62, 8, s46                                      // 0000000088E8: 803E2E88
	s_cmp_lt_i32 s74, s62                                      // 0000000088EC: BF043E4A
	s_cbranch_scc1 label_132D                                  // 0000000088F0: BF85005E
	s_cmp_eq_i32 s74, s62                                      // 0000000088F4: BF003E4A
	s_cbranch_scc1 label_1312                                  // 0000000088F8: BF850041
	s_branch label_1332                                        // 0000000088FC: BF820060

0000000000008900 <label_12D2>:
	v_cndmask_b32_e64 v64, v64, v178, s[60:61]                 // 000000008900: D1000040 00F36540
	s_lshl_b32 s60, s60, 1                                     // 000000008908: 8E3C813C
	s_lshl_b32 s61, s61, 1                                     // 00000000890C: 8E3D813D
	s_and_b32 s60, 0xfffeffff, s60                             // 000000008910: 863C3CFF FFFEFFFF
	s_and_b32 s61, 0xfffeffff, s61                             // 000000008918: 863D3DFF FFFEFFFF
	v_cndmask_b32_e64 v65, v65, v178, s[60:61]                 // 000000008920: D1000041 00F36541
	s_lshl_b32 s60, s60, 1                                     // 000000008928: 8E3C813C
	s_lshl_b32 s61, s61, 1                                     // 00000000892C: 8E3D813D
	s_and_b32 s60, 0xfffeffff, s60                             // 000000008930: 863C3CFF FFFEFFFF
	s_and_b32 s61, 0xfffeffff, s61                             // 000000008938: 863D3DFF FFFEFFFF
	v_cndmask_b32_e64 v66, v66, v178, s[60:61]                 // 000000008940: D1000042 00F36542
	s_lshl_b32 s60, s60, 1                                     // 000000008948: 8E3C813C
	s_lshl_b32 s61, s61, 1                                     // 00000000894C: 8E3D813D
	s_and_b32 s60, 0xfffeffff, s60                             // 000000008950: 863C3CFF FFFEFFFF
	s_and_b32 s61, 0xfffeffff, s61                             // 000000008958: 863D3DFF FFFEFFFF
	v_cndmask_b32_e64 v67, v67, v178, s[60:61]                 // 000000008960: D1000043 00F36543
	s_branch label_130D                                        // 000000008968: BF820020

000000000000896c <label_12ED>:
	v_mov_b32_e32 v64, v178                                    // 00000000896C: 7E8003B2
	v_mov_b32_e32 v65, v178                                    // 000000008970: 7E8203B2
	v_mov_b32_e32 v66, v178                                    // 000000008974: 7E8403B2
	v_mov_b32_e32 v67, v178                                    // 000000008978: 7E8603B2
	s_branch label_130D                                        // 00000000897C: BF82001B

0000000000008980 <label_12F2>:
	v_cndmask_b32_e64 v68, v68, v178, s[60:61]                 // 000000008980: D1000044 00F36544
	s_lshl_b32 s60, s60, 1                                     // 000000008988: 8E3C813C
	s_lshl_b32 s61, s61, 1                                     // 00000000898C: 8E3D813D
	s_and_b32 s60, 0xfffeffff, s60                             // 000000008990: 863C3CFF FFFEFFFF
	s_and_b32 s61, 0xfffeffff, s61                             // 000000008998: 863D3DFF FFFEFFFF
	v_cndmask_b32_e64 v69, v69, v178, s[60:61]                 // 0000000089A0: D1000045 00F36545
	s_lshl_b32 s60, s60, 1                                     // 0000000089A8: 8E3C813C
	s_lshl_b32 s61, s61, 1                                     // 0000000089AC: 8E3D813D
	s_and_b32 s60, 0xfffeffff, s60                             // 0000000089B0: 863C3CFF FFFEFFFF
	s_and_b32 s61, 0xfffeffff, s61                             // 0000000089B8: 863D3DFF FFFEFFFF
	v_cndmask_b32_e64 v70, v70, v178, s[60:61]                 // 0000000089C0: D1000046 00F36546
	s_lshl_b32 s60, s60, 1                                     // 0000000089C8: 8E3C813C
	s_lshl_b32 s61, s61, 1                                     // 0000000089CC: 8E3D813D
	s_and_b32 s60, 0xfffeffff, s60                             // 0000000089D0: 863C3CFF FFFEFFFF
	s_and_b32 s61, 0xfffeffff, s61                             // 0000000089D8: 863D3DFF FFFEFFFF
	v_cndmask_b32_e64 v71, v71, v178, s[60:61]                 // 0000000089E0: D1000047 00F36547
	s_branch label_132D                                        // 0000000089E8: BF820020

00000000000089ec <label_130D>:
	v_mov_b32_e32 v68, v178                                    // 0000000089EC: 7E8803B2
	v_mov_b32_e32 v69, v178                                    // 0000000089F0: 7E8A03B2
	v_mov_b32_e32 v70, v178                                    // 0000000089F4: 7E8C03B2
	v_mov_b32_e32 v71, v178                                    // 0000000089F8: 7E8E03B2
	s_branch label_132D                                        // 0000000089FC: BF82001B

0000000000008a00 <label_1312>:
	v_cndmask_b32_e64 v72, v72, v178, s[60:61]                 // 000000008A00: D1000048 00F36548
	s_lshl_b32 s60, s60, 1                                     // 000000008A08: 8E3C813C
	s_lshl_b32 s61, s61, 1                                     // 000000008A0C: 8E3D813D
	s_and_b32 s60, 0xfffeffff, s60                             // 000000008A10: 863C3CFF FFFEFFFF
	s_and_b32 s61, 0xfffeffff, s61                             // 000000008A18: 863D3DFF FFFEFFFF
	v_cndmask_b32_e64 v73, v73, v178, s[60:61]                 // 000000008A20: D1000049 00F36549
	s_lshl_b32 s60, s60, 1                                     // 000000008A28: 8E3C813C
	s_lshl_b32 s61, s61, 1                                     // 000000008A2C: 8E3D813D
	s_and_b32 s60, 0xfffeffff, s60                             // 000000008A30: 863C3CFF FFFEFFFF
	s_and_b32 s61, 0xfffeffff, s61                             // 000000008A38: 863D3DFF FFFEFFFF
	v_cndmask_b32_e64 v74, v74, v178, s[60:61]                 // 000000008A40: D100004A 00F3654A
	s_lshl_b32 s60, s60, 1                                     // 000000008A48: 8E3C813C
	s_lshl_b32 s61, s61, 1                                     // 000000008A4C: 8E3D813D
	s_and_b32 s60, 0xfffeffff, s60                             // 000000008A50: 863C3CFF FFFEFFFF
	s_and_b32 s61, 0xfffeffff, s61                             // 000000008A58: 863D3DFF FFFEFFFF
	v_cndmask_b32_e64 v75, v75, v178, s[60:61]                 // 000000008A60: D100004B 00F3654B
	s_branch label_1332                                        // 000000008A68: BF820005

0000000000008a6c <label_132D>:
	v_mov_b32_e32 v72, v178                                    // 000000008A6C: 7E9003B2
	v_mov_b32_e32 v73, v178                                    // 000000008A70: 7E9203B2
	v_mov_b32_e32 v74, v178                                    // 000000008A74: 7E9403B2
	v_mov_b32_e32 v75, v178                                    // 000000008A78: 7E9603B2
	s_branch label_1332                                        // 000000008A7C: BF820000

0000000000008a80 <label_1332>:
	s_cmp_lt_i32 s101, 0xc0                                    // 000000008A80: BF04FF65 000000C0
	s_cbranch_scc0 label_13AB                                  // 000000008A88: BF84006D
	s_cmp_le_i32 s101, 64                                      // 000000008A8C: BF05C065
	s_cbranch_scc1 label_133E                                  // 000000008A90: BF850007
	s_cmp_le_i32 s101, 0x80                                    // 000000008A94: BF05FF65 00000080
	s_cbranch_scc1 label_1362                                  // 000000008A9C: BF85001F
	s_cmp_lt_i32 s101, 0xc0                                    // 000000008AA0: BF04FF65 000000C0
	s_cbranch_scc1 label_1386                                  // 000000008AA8: BF850040
	s_branch label_13AB                                        // 000000008AAC: BF820064

0000000000008ab0 <label_133E>:
	s_mov_b32 s60, 0                                           // 000000008AB0: BEBC0080
	v_and_b32_e32 v32, 15, v0                                  // 000000008AB4: 2640008F
	v_add_u32_e64 v32, v32, s60                                // 000000008AB8: D1340020 00007920
	v_mul_i32_i24_e64 v33, s46, 16                             // 000000008AC0: D1060021 0001202E
	v_add_u32_e32 v32, v32, v33                                // 000000008AC8: 68404320
	v_cmp_lt_u32_e64 s[60:61], v32, s101                       // 000000008ACC: D0C9003C 0000CB20
	s_nop 1                                                    // 000000008AD4: BF800001
	v_cndmask_b32_e64 v52, v178, v52, s[60:61]                 // 000000008AD8: D1000034 00F269B2
	v_cndmask_b32_e64 v64, v178, v64, s[60:61]                 // 000000008AE0: D1000040 00F281B2
	v_cndmask_b32_e64 v53, v178, v53, s[60:61]                 // 000000008AE8: D1000035 00F26BB2
	v_cndmask_b32_e64 v65, v178, v65, s[60:61]                 // 000000008AF0: D1000041 00F283B2
	v_cndmask_b32_e64 v54, v178, v54, s[60:61]                 // 000000008AF8: D1000036 00F26DB2
	v_cndmask_b32_e64 v66, v178, v66, s[60:61]                 // 000000008B00: D1000042 00F285B2
	v_cndmask_b32_e64 v55, v178, v55, s[60:61]                 // 000000008B08: D1000037 00F26FB2
	v_cndmask_b32_e64 v67, v178, v67, s[60:61]                 // 000000008B10: D1000043 00F287B2
	s_branch label_137D                                        // 000000008B18: BF82001B

0000000000008b1c <label_1362>:
	s_mov_b32 s60, 64                                          // 000000008B1C: BEBC00C0
	v_and_b32_e32 v32, 15, v0                                  // 000000008B20: 2640008F
	v_add_u32_e64 v32, v32, s60                                // 000000008B24: D1340020 00007920
	v_mul_i32_i24_e64 v33, s46, 16                             // 000000008B2C: D1060021 0001202E
	v_add_u32_e32 v32, v32, v33                                // 000000008B34: 68404320
	v_cmp_lt_u32_e64 s[60:61], v32, s101                       // 000000008B38: D0C9003C 0000CB20
	s_nop 1                                                    // 000000008B40: BF800001
	v_cndmask_b32_e64 v56, v178, v56, s[60:61]                 // 000000008B44: D1000038 00F271B2
	v_cndmask_b32_e64 v68, v178, v68, s[60:61]                 // 000000008B4C: D1000044 00F289B2
	v_cndmask_b32_e64 v57, v178, v57, s[60:61]                 // 000000008B54: D1000039 00F273B2
	v_cndmask_b32_e64 v69, v178, v69, s[60:61]                 // 000000008B5C: D1000045 00F28BB2
	v_cndmask_b32_e64 v58, v178, v58, s[60:61]                 // 000000008B64: D100003A 00F275B2
	v_cndmask_b32_e64 v70, v178, v70, s[60:61]                 // 000000008B6C: D1000046 00F28DB2
	v_cndmask_b32_e64 v59, v178, v59, s[60:61]                 // 000000008B74: D100003B 00F277B2
	v_cndmask_b32_e64 v71, v178, v71, s[60:61]                 // 000000008B7C: D1000047 00F28FB2
	s_branch label_13A2                                        // 000000008B84: BF820025

0000000000008b88 <label_137D>:
	v_mov_b32_e32 v56, v178                                    // 000000008B88: 7E7003B2
	v_mov_b32_e32 v68, v178                                    // 000000008B8C: 7E8803B2
	v_mov_b32_e32 v57, v178                                    // 000000008B90: 7E7203B2
	v_mov_b32_e32 v69, v178                                    // 000000008B94: 7E8A03B2
	v_mov_b32_e32 v58, v178                                    // 000000008B98: 7E7403B2
	v_mov_b32_e32 v70, v178                                    // 000000008B9C: 7E8C03B2
	v_mov_b32_e32 v59, v178                                    // 000000008BA0: 7E7603B2
	v_mov_b32_e32 v71, v178                                    // 000000008BA4: 7E8E03B2
	s_branch label_13A2                                        // 000000008BA8: BF82001C

0000000000008bac <label_1386>:
	s_mov_b32 s60, 0x80                                        // 000000008BAC: BEBC00FF 00000080
	v_and_b32_e32 v32, 15, v0                                  // 000000008BB4: 2640008F
	v_add_u32_e64 v32, v32, s60                                // 000000008BB8: D1340020 00007920
	v_mul_i32_i24_e64 v33, s46, 16                             // 000000008BC0: D1060021 0001202E
	v_add_u32_e32 v32, v32, v33                                // 000000008BC8: 68404320
	v_cmp_lt_u32_e64 s[60:61], v32, s101                       // 000000008BCC: D0C9003C 0000CB20
	s_nop 1                                                    // 000000008BD4: BF800001
	v_cndmask_b32_e64 v60, v178, v60, s[60:61]                 // 000000008BD8: D100003C 00F279B2
	v_cndmask_b32_e64 v72, v178, v72, s[60:61]                 // 000000008BE0: D1000048 00F291B2
	v_cndmask_b32_e64 v61, v178, v61, s[60:61]                 // 000000008BE8: D100003D 00F27BB2
	v_cndmask_b32_e64 v73, v178, v73, s[60:61]                 // 000000008BF0: D1000049 00F293B2
	v_cndmask_b32_e64 v62, v178, v62, s[60:61]                 // 000000008BF8: D100003E 00F27DB2
	v_cndmask_b32_e64 v74, v178, v74, s[60:61]                 // 000000008C00: D100004A 00F295B2
	v_cndmask_b32_e64 v63, v178, v63, s[60:61]                 // 000000008C08: D100003F 00F27FB2
	v_cndmask_b32_e64 v75, v178, v75, s[60:61]                 // 000000008C10: D100004B 00F297B2
	s_branch label_13AB                                        // 000000008C18: BF820009

0000000000008c1c <label_13A2>:
	v_mov_b32_e32 v60, v178                                    // 000000008C1C: 7E7803B2
	v_mov_b32_e32 v72, v178                                    // 000000008C20: 7E9003B2
	v_mov_b32_e32 v61, v178                                    // 000000008C24: 7E7A03B2
	v_mov_b32_e32 v73, v178                                    // 000000008C28: 7E9203B2
	v_mov_b32_e32 v62, v178                                    // 000000008C2C: 7E7C03B2
	v_mov_b32_e32 v74, v178                                    // 000000008C30: 7E9403B2
	v_mov_b32_e32 v63, v178                                    // 000000008C34: 7E7E03B2
	v_mov_b32_e32 v75, v178                                    // 000000008C38: 7E9603B2
	s_branch label_13AB                                        // 000000008C3C: BF820000

0000000000008c40 <label_13AB>:
	s_addk_i32 s74, 0x1                                        // 000000008C40: B74A0001
	s_waitcnt lgkmcnt(8)                                       // 000000008C44: BF8CC87F
	s_barrier                                                  // 000000008C48: BF8A0000
	v_mfma_f32_16x16x16_bf16 v[76:79], v[108:109], a[72:73], 0 // 000000008C4C: D3E1004C 1202916C
	v_fma_f32 v52, v52, s57, -v140                             // 000000008C54: D1CB0034 86307334
	v_fma_f32 v53, v53, s57, -v141                             // 000000008C5C: D1CB0035 86347335
	v_fma_f32 v54, v54, s57, -v142                             // 000000008C64: D1CB0036 86387336
	v_fma_f32 v55, v55, s57, -v143                             // 000000008C6C: D1CB0037 863C7337
	v_fma_f32 v56, v56, s57, -v140                             // 000000008C74: D1CB0038 86307338
	v_fma_f32 v57, v57, s57, -v141                             // 000000008C7C: D1CB0039 86347339
	v_mfma_f32_16x16x16_bf16 v[76:79], v[110:111], a[74:75], v[76:79]// 000000008C84: D3E1004C 1532956E
	ds_read_b128 a[96:99], v14 offset:4352                     // 000000008C8C: DBFE1100 6000000E
	ds_read_b128 a[100:103], v14 offset:4864                   // 000000008C94: DBFE1300 6400000E
	v_mfma_f32_16x16x16_bf16 v[76:79], v[112:113], a[76:77], v[76:79]// 000000008C9C: D3E1004C 15329970
	v_fma_f32 v58, v58, s57, -v142                             // 000000008CA4: D1CB003A 8638733A
	v_fma_f32 v59, v59, s57, -v143                             // 000000008CAC: D1CB003B 863C733B
	v_fma_f32 v60, v60, s57, -v140                             // 000000008CB4: D1CB003C 8630733C
	v_fma_f32 v61, v61, s57, -v141                             // 000000008CBC: D1CB003D 8634733D
	v_fma_f32 v62, v62, s57, -v142                             // 000000008CC4: D1CB003E 8638733E
	v_fma_f32 v63, v63, s57, -v143                             // 000000008CCC: D1CB003F 863C733F
	v_mfma_f32_16x16x16_bf16 v[76:79], v[114:115], a[78:79], v[76:79]// 000000008CD4: D3E1004C 15329D72
	v_fma_f32 v64, v64, s57, -v144                             // 000000008CDC: D1CB0040 86407340
	v_fma_f32 v65, v65, s57, -v145                             // 000000008CE4: D1CB0041 86447341
	v_fma_f32 v66, v66, s57, -v146                             // 000000008CEC: D1CB0042 86487342
	v_fma_f32 v67, v67, s57, -v147                             // 000000008CF4: D1CB0043 864C7343
	v_fma_f32 v68, v68, s57, -v144                             // 000000008CFC: D1CB0044 86407344
	v_fma_f32 v69, v69, s57, -v145                             // 000000008D04: D1CB0045 86447345
	v_mfma_f32_16x16x16_bf16 v[80:83], v[108:109], a[80:81], 0 // 000000008D0C: D3E10050 1202A16C
	v_fma_f32 v70, v70, s57, -v146                             // 000000008D14: D1CB0046 86487346
	v_fma_f32 v71, v71, s57, -v147                             // 000000008D1C: D1CB0047 864C7347
	v_fma_f32 v72, v72, s57, -v144                             // 000000008D24: D1CB0048 86407348
	v_fma_f32 v73, v73, s57, -v145                             // 000000008D2C: D1CB0049 86447349
	v_fma_f32 v74, v74, s57, -v146                             // 000000008D34: D1CB004A 8648734A
	v_fma_f32 v75, v75, s57, -v147                             // 000000008D3C: D1CB004B 864C734B
	v_mfma_f32_16x16x16_bf16 v[80:83], v[110:111], a[82:83], v[80:83]// 000000008D44: D3E10050 1542A56E
	ds_read_b128 a[104:107], v14 offset:6528                   // 000000008D4C: DBFE1980 6800000E
	ds_read_b128 a[108:111], v14 offset:7040                   // 000000008D54: DBFE1B80 6C00000E
	v_mfma_f32_16x16x16_bf16 v[80:83], v[112:113], a[84:85], v[80:83]// 000000008D5C: D3E10050 1542A970
	v_exp_f32_e32 v52, v52                                     // 000000008D64: 7E684134
	v_exp_f32_e32 v53, v53                                     // 000000008D68: 7E6A4135
	v_mfma_f32_16x16x16_bf16 v[80:83], v[114:115], a[86:87], v[80:83]// 000000008D6C: D3E10050 1542AD72
	v_exp_f32_e32 v54, v54                                     // 000000008D74: 7E6C4136
	v_exp_f32_e32 v55, v55                                     // 000000008D78: 7E6E4137
	v_mfma_f32_16x16x16_bf16 v[84:87], v[108:109], a[88:89], 0 // 000000008D7C: D3E10054 1202B16C
	v_exp_f32_e32 v56, v56                                     // 000000008D84: 7E704138
	v_exp_f32_e32 v57, v57                                     // 000000008D88: 7E724139
	v_mfma_f32_16x16x16_bf16 v[84:87], v[110:111], a[90:91], v[84:87]// 000000008D8C: D3E10054 1552B56E
	ds_read_b64 v[156:157], v21 offset:31232                   // 000000008D94: D8EC7A00 9C000015
	ds_read_b64 v[158:159], v21 offset:33280                   // 000000008D9C: D8EC8200 9E000015
	v_mfma_f32_16x16x16_bf16 v[84:87], v[112:113], a[92:93], v[84:87]// 000000008DA4: D3E10054 1552B970
	v_exp_f32_e32 v58, v58                                     // 000000008DAC: 7E74413A
	v_exp_f32_e32 v59, v59                                     // 000000008DB0: 7E76413B
	v_mfma_f32_16x16x16_bf16 v[84:87], v[114:115], a[94:95], v[84:87]// 000000008DB4: D3E10054 1552BD72
	ds_read_b64 v[160:161], v21 offset:35328                   // 000000008DBC: D8EC8A00 A0000015
	ds_read_b64 v[162:163], v21 offset:37376                   // 000000008DC4: D8EC9200 A2000015
	v_mfma_f32_16x16x16_bf16 v[88:91], v[116:117], a[72:73], 0 // 000000008DCC: D3E10058 12029174
	v_exp_f32_e32 v60, v60                                     // 000000008DD4: 7E78413C
	v_exp_f32_e32 v61, v61                                     // 000000008DD8: 7E7A413D
	v_mfma_f32_16x16x16_bf16 v[88:91], v[118:119], a[74:75], v[88:91]// 000000008DDC: D3E10058 15629576
	v_exp_f32_e32 v62, v62                                     // 000000008DE4: 7E7C413E
	v_exp_f32_e32 v63, v63                                     // 000000008DE8: 7E7E413F
	v_mfma_f32_16x16x16_bf16 v[88:91], v[120:121], a[76:77], v[88:91]// 000000008DEC: D3E10058 15629978
	v_exp_f32_e32 v64, v64                                     // 000000008DF4: 7E804140
	v_exp_f32_e32 v65, v65                                     // 000000008DF8: 7E824141
	v_mfma_f32_16x16x16_bf16 v[88:91], v[122:123], a[78:79], v[88:91]// 000000008DFC: D3E10058 15629D7A
	v_exp_f32_e32 v66, v66                                     // 000000008E04: 7E844142
	v_exp_f32_e32 v67, v67                                     // 000000008E08: 7E864143
	v_mfma_f32_16x16x16_bf16 v[92:95], v[116:117], a[80:81], 0 // 000000008E0C: D3E1005C 1202A174
	v_exp_f32_e32 v68, v68                                     // 000000008E14: 7E884144
	v_exp_f32_e32 v69, v69                                     // 000000008E18: 7E8A4145
	v_mfma_f32_16x16x16_bf16 v[92:95], v[118:119], a[82:83], v[92:95]// 000000008E1C: D3E1005C 1572A576
	v_exp_f32_e32 v70, v70                                     // 000000008E24: 7E8C4146
	v_exp_f32_e32 v71, v71                                     // 000000008E28: 7E8E4147
	v_mfma_f32_16x16x16_bf16 v[92:95], v[120:121], a[84:85], v[92:95]// 000000008E2C: D3E1005C 1572A978
	v_exp_f32_e32 v72, v72                                     // 000000008E34: 7E904148
	v_exp_f32_e32 v73, v73                                     // 000000008E38: 7E924149
	v_mfma_f32_16x16x16_bf16 v[92:95], v[122:123], a[86:87], v[92:95]// 000000008E3C: D3E1005C 1572AD7A
	v_exp_f32_e32 v74, v74                                     // 000000008E44: 7E94414A
	v_exp_f32_e32 v75, v75                                     // 000000008E48: 7E96414B
	v_mfma_f32_16x16x16_bf16 v[96:99], v[116:117], a[88:89], 0 // 000000008E4C: D3E10060 1202B174
	v_cmp_u_f32_e64 s[78:79], v52, v52                         // 000000008E54: D048004E 00026934
	v_bfe_u32 v228, v52, 16, 1                                 // 000000008E5C: D1C800E4 02052134
	v_add3_u32 v228, v52, v228, v231                           // 000000008E64: D1FF00E4 079FC934
	v_cndmask_b32_e64 v32, v228, v230, s[78:79]                // 000000008E6C: D1000020 013BCDE4
	v_lshrrev_b32_e32 v32, 16, v32                             // 000000008E74: 20404090
	v_cmp_u_f32_e64 s[78:79], v53, v53                         // 000000008E78: D048004E 00026B35
	v_bfe_u32 v228, v53, 16, 1                                 // 000000008E80: D1C800E4 02052135
	v_add3_u32 v228, v53, v228, v231                           // 000000008E88: D1FF00E4 079FC935
	v_cndmask_b32_e64 v33, v228, v230, s[78:79]                // 000000008E90: D1000021 013BCDE4
	v_and_or_b32 v164, v33, v229, v32                          // 000000008E98: D20100A4 0483CB21
	v_cmp_u_f32_e64 s[78:79], v54, v54                         // 000000008EA0: D048004E 00026D36
	v_bfe_u32 v228, v54, 16, 1                                 // 000000008EA8: D1C800E4 02052136
	v_add3_u32 v228, v54, v228, v231                           // 000000008EB0: D1FF00E4 079FC936
	v_cndmask_b32_e64 v32, v228, v230, s[78:79]                // 000000008EB8: D1000020 013BCDE4
	v_lshrrev_b32_e32 v32, 16, v32                             // 000000008EC0: 20404090
	v_cmp_u_f32_e64 s[78:79], v55, v55                         // 000000008EC4: D048004E 00026F37
	v_bfe_u32 v228, v55, 16, 1                                 // 000000008ECC: D1C800E4 02052137
	v_add3_u32 v228, v55, v228, v231                           // 000000008ED4: D1FF00E4 079FC937
	v_cndmask_b32_e64 v33, v228, v230, s[78:79]                // 000000008EDC: D1000021 013BCDE4
	v_and_or_b32 v165, v33, v229, v32                          // 000000008EE4: D20100A5 0483CB21
	v_cmp_u_f32_e64 s[78:79], v56, v56                         // 000000008EEC: D048004E 00027138
	v_bfe_u32 v228, v56, 16, 1                                 // 000000008EF4: D1C800E4 02052138
	v_add3_u32 v228, v56, v228, v231                           // 000000008EFC: D1FF00E4 079FC938
	v_cndmask_b32_e64 v32, v228, v230, s[78:79]                // 000000008F04: D1000020 013BCDE4
	v_lshrrev_b32_e32 v32, 16, v32                             // 000000008F0C: 20404090
	v_cmp_u_f32_e64 s[78:79], v57, v57                         // 000000008F10: D048004E 00027339
	v_bfe_u32 v228, v57, 16, 1                                 // 000000008F18: D1C800E4 02052139
	v_add3_u32 v228, v57, v228, v231                           // 000000008F20: D1FF00E4 079FC939
	v_cndmask_b32_e64 v33, v228, v230, s[78:79]                // 000000008F28: D1000021 013BCDE4
	v_and_or_b32 v166, v33, v229, v32                          // 000000008F30: D20100A6 0483CB21
	v_cmp_u_f32_e64 s[78:79], v58, v58                         // 000000008F38: D048004E 0002753A
	v_bfe_u32 v228, v58, 16, 1                                 // 000000008F40: D1C800E4 0205213A
	v_add3_u32 v228, v58, v228, v231                           // 000000008F48: D1FF00E4 079FC93A
	v_cndmask_b32_e64 v32, v228, v230, s[78:79]                // 000000008F50: D1000020 013BCDE4
	v_lshrrev_b32_e32 v32, 16, v32                             // 000000008F58: 20404090
	v_cmp_u_f32_e64 s[78:79], v59, v59                         // 000000008F5C: D048004E 0002773B
	v_bfe_u32 v228, v59, 16, 1                                 // 000000008F64: D1C800E4 0205213B
	v_add3_u32 v228, v59, v228, v231                           // 000000008F6C: D1FF00E4 079FC93B
	v_cndmask_b32_e64 v33, v228, v230, s[78:79]                // 000000008F74: D1000021 013BCDE4
	v_and_or_b32 v167, v33, v229, v32                          // 000000008F7C: D20100A7 0483CB21
	v_cmp_u_f32_e64 s[78:79], v60, v60                         // 000000008F84: D048004E 0002793C
	v_bfe_u32 v228, v60, 16, 1                                 // 000000008F8C: D1C800E4 0205213C
	v_add3_u32 v228, v60, v228, v231                           // 000000008F94: D1FF00E4 079FC93C
	v_cndmask_b32_e64 v32, v228, v230, s[78:79]                // 000000008F9C: D1000020 013BCDE4
	v_lshrrev_b32_e32 v32, 16, v32                             // 000000008FA4: 20404090
	v_cmp_u_f32_e64 s[78:79], v61, v61                         // 000000008FA8: D048004E 00027B3D
	v_bfe_u32 v228, v61, 16, 1                                 // 000000008FB0: D1C800E4 0205213D
	v_add3_u32 v228, v61, v228, v231                           // 000000008FB8: D1FF00E4 079FC93D
	v_cndmask_b32_e64 v33, v228, v230, s[78:79]                // 000000008FC0: D1000021 013BCDE4
	v_and_or_b32 v168, v33, v229, v32                          // 000000008FC8: D20100A8 0483CB21
	v_cmp_u_f32_e64 s[78:79], v62, v62                         // 000000008FD0: D048004E 00027D3E
	v_bfe_u32 v228, v62, 16, 1                                 // 000000008FD8: D1C800E4 0205213E
	v_add3_u32 v228, v62, v228, v231                           // 000000008FE0: D1FF00E4 079FC93E
	v_cndmask_b32_e64 v32, v228, v230, s[78:79]                // 000000008FE8: D1000020 013BCDE4
	v_lshrrev_b32_e32 v32, 16, v32                             // 000000008FF0: 20404090
	v_cmp_u_f32_e64 s[78:79], v63, v63                         // 000000008FF4: D048004E 00027F3F
	v_bfe_u32 v228, v63, 16, 1                                 // 000000008FFC: D1C800E4 0205213F
	v_add3_u32 v228, v63, v228, v231                           // 000000009004: D1FF00E4 079FC93F
	v_cndmask_b32_e64 v33, v228, v230, s[78:79]                // 00000000900C: D1000021 013BCDE4
	v_and_or_b32 v169, v33, v229, v32                          // 000000009014: D20100A9 0483CB21
	v_mfma_f32_16x16x16_bf16 v[96:99], v[118:119], a[90:91], v[96:99]// 00000000901C: D3E10060 1582B576
	v_cmp_u_f32_e64 s[78:79], v64, v64                         // 000000009024: D048004E 00028140
	v_bfe_u32 v228, v64, 16, 1                                 // 00000000902C: D1C800E4 02052140
	v_add3_u32 v228, v64, v228, v231                           // 000000009034: D1FF00E4 079FC940
	v_cndmask_b32_e64 v32, v228, v230, s[78:79]                // 00000000903C: D1000020 013BCDE4
	v_lshrrev_b32_e32 v32, 16, v32                             // 000000009044: 20404090
	v_cmp_u_f32_e64 s[78:79], v65, v65                         // 000000009048: D048004E 00028341
	v_bfe_u32 v228, v65, 16, 1                                 // 000000009050: D1C800E4 02052141
	v_add3_u32 v228, v65, v228, v231                           // 000000009058: D1FF00E4 079FC941
	v_cndmask_b32_e64 v33, v228, v230, s[78:79]                // 000000009060: D1000021 013BCDE4
	v_and_or_b32 v170, v33, v229, v32                          // 000000009068: D20100AA 0483CB21
	v_cmp_u_f32_e64 s[78:79], v66, v66                         // 000000009070: D048004E 00028542
	v_bfe_u32 v228, v66, 16, 1                                 // 000000009078: D1C800E4 02052142
	v_add3_u32 v228, v66, v228, v231                           // 000000009080: D1FF00E4 079FC942
	v_cndmask_b32_e64 v32, v228, v230, s[78:79]                // 000000009088: D1000020 013BCDE4
	v_lshrrev_b32_e32 v32, 16, v32                             // 000000009090: 20404090
	v_cmp_u_f32_e64 s[78:79], v67, v67                         // 000000009094: D048004E 00028743
	v_bfe_u32 v228, v67, 16, 1                                 // 00000000909C: D1C800E4 02052143
	v_add3_u32 v228, v67, v228, v231                           // 0000000090A4: D1FF00E4 079FC943
	v_cndmask_b32_e64 v33, v228, v230, s[78:79]                // 0000000090AC: D1000021 013BCDE4
	v_and_or_b32 v171, v33, v229, v32                          // 0000000090B4: D20100AB 0483CB21
	v_cmp_u_f32_e64 s[78:79], v68, v68                         // 0000000090BC: D048004E 00028944
	v_bfe_u32 v228, v68, 16, 1                                 // 0000000090C4: D1C800E4 02052144
	v_add3_u32 v228, v68, v228, v231                           // 0000000090CC: D1FF00E4 079FC944
	v_cndmask_b32_e64 v32, v228, v230, s[78:79]                // 0000000090D4: D1000020 013BCDE4
	v_lshrrev_b32_e32 v32, 16, v32                             // 0000000090DC: 20404090
	v_cmp_u_f32_e64 s[78:79], v69, v69                         // 0000000090E0: D048004E 00028B45
	v_bfe_u32 v228, v69, 16, 1                                 // 0000000090E8: D1C800E4 02052145
	v_add3_u32 v228, v69, v228, v231                           // 0000000090F0: D1FF00E4 079FC945
	v_cndmask_b32_e64 v33, v228, v230, s[78:79]                // 0000000090F8: D1000021 013BCDE4
	v_and_or_b32 v172, v33, v229, v32                          // 000000009100: D20100AC 0483CB21
	v_cmp_u_f32_e64 s[78:79], v70, v70                         // 000000009108: D048004E 00028D46
	v_bfe_u32 v228, v70, 16, 1                                 // 000000009110: D1C800E4 02052146
	v_add3_u32 v228, v70, v228, v231                           // 000000009118: D1FF00E4 079FC946
	v_cndmask_b32_e64 v32, v228, v230, s[78:79]                // 000000009120: D1000020 013BCDE4
	v_lshrrev_b32_e32 v32, 16, v32                             // 000000009128: 20404090
	v_cmp_u_f32_e64 s[78:79], v71, v71                         // 00000000912C: D048004E 00028F47
	v_bfe_u32 v228, v71, 16, 1                                 // 000000009134: D1C800E4 02052147
	v_add3_u32 v228, v71, v228, v231                           // 00000000913C: D1FF00E4 079FC947
	v_cndmask_b32_e64 v33, v228, v230, s[78:79]                // 000000009144: D1000021 013BCDE4
	v_and_or_b32 v173, v33, v229, v32                          // 00000000914C: D20100AD 0483CB21
	v_cmp_u_f32_e64 s[78:79], v72, v72                         // 000000009154: D048004E 00029148
	v_bfe_u32 v228, v72, 16, 1                                 // 00000000915C: D1C800E4 02052148
	v_add3_u32 v228, v72, v228, v231                           // 000000009164: D1FF00E4 079FC948
	v_cndmask_b32_e64 v32, v228, v230, s[78:79]                // 00000000916C: D1000020 013BCDE4
	v_lshrrev_b32_e32 v32, 16, v32                             // 000000009174: 20404090
	v_cmp_u_f32_e64 s[78:79], v73, v73                         // 000000009178: D048004E 00029349
	v_bfe_u32 v228, v73, 16, 1                                 // 000000009180: D1C800E4 02052149
	v_add3_u32 v228, v73, v228, v231                           // 000000009188: D1FF00E4 079FC949
	v_cndmask_b32_e64 v33, v228, v230, s[78:79]                // 000000009190: D1000021 013BCDE4
	v_and_or_b32 v174, v33, v229, v32                          // 000000009198: D20100AE 0483CB21
	v_cmp_u_f32_e64 s[78:79], v74, v74                         // 0000000091A0: D048004E 0002954A
	v_bfe_u32 v228, v74, 16, 1                                 // 0000000091A8: D1C800E4 0205214A
	v_add3_u32 v228, v74, v228, v231                           // 0000000091B0: D1FF00E4 079FC94A
	v_cndmask_b32_e64 v32, v228, v230, s[78:79]                // 0000000091B8: D1000020 013BCDE4
	v_lshrrev_b32_e32 v32, 16, v32                             // 0000000091C0: 20404090
	v_cmp_u_f32_e64 s[78:79], v75, v75                         // 0000000091C4: D048004E 0002974B
	v_bfe_u32 v228, v75, 16, 1                                 // 0000000091CC: D1C800E4 0205214B
	v_add3_u32 v228, v75, v228, v231                           // 0000000091D4: D1FF00E4 079FC94B
	v_cndmask_b32_e64 v33, v228, v230, s[78:79]                // 0000000091DC: D1000021 013BCDE4
	v_and_or_b32 v175, v33, v229, v32                          // 0000000091E4: D20100AF 0483CB21
	v_mfma_f32_16x16x16_bf16 v[96:99], v[120:121], a[92:93], v[96:99]// 0000000091EC: D3E10060 1582B978
	v_add_u32_e32 v6, s66, v6                                  // 0000000091F4: 680C0C42
	v_add_u32_e32 v7, s66, v7                                  // 0000000091F8: 680E0E42
	v_add_u32_e32 v8, s66, v8                                  // 0000000091FC: 68101042
	v_add_u32_e32 v9, s66, v9                                  // 000000009200: 68121242
	v_mfma_f32_16x16x16_bf16 v[96:99], v[122:123], a[94:95], v[96:99]// 000000009204: D3E10060 1582BD7A
	s_waitcnt lgkmcnt(0)                                       // 00000000920C: BF8CC07F
	s_barrier                                                  // 000000009210: BF8A0000
	v_mfma_f32_16x16x16_bf16 v[180:183], v[124:125], v[164:165], v[180:183]// 000000009214: D3E100B4 06D3497C
	v_subrev_f32_dpp v76, v176, v76 quad_perm:[0,0,0,0] row_mask:0xf bank_mask:0xf// 00000000921C: 069898FA FF0000B0
	v_subrev_f32_dpp v77, v176, v77 quad_perm:[1,1,1,1] row_mask:0xf bank_mask:0xf// 000000009224: 069A9AFA FF0055B0
	v_subrev_f32_dpp v78, v176, v78 quad_perm:[2,2,2,2] row_mask:0xf bank_mask:0xf// 00000000922C: 069C9CFA FF00AAB0
	v_subrev_f32_dpp v79, v176, v79 quad_perm:[3,3,3,3] row_mask:0xf bank_mask:0xf// 000000009234: 069E9EFA FF00FFB0
	v_subrev_f32_dpp v80, v176, v80 quad_perm:[0,0,0,0] row_mask:0xf bank_mask:0xf// 00000000923C: 06A0A0FA FF0000B0
	v_subrev_f32_dpp v81, v176, v81 quad_perm:[1,1,1,1] row_mask:0xf bank_mask:0xf// 000000009244: 06A2A2FA FF0055B0
	v_mfma_f32_16x16x16_bf16 v[184:187], v[126:127], v[164:165], v[184:187]// 00000000924C: D3E100B8 06E3497E
	v_subrev_f32_dpp v82, v176, v82 quad_perm:[2,2,2,2] row_mask:0xf bank_mask:0xf// 000000009254: 06A4A4FA FF00AAB0
	v_subrev_f32_dpp v83, v176, v83 quad_perm:[3,3,3,3] row_mask:0xf bank_mask:0xf// 00000000925C: 06A6A6FA FF00FFB0
	v_subrev_f32_dpp v84, v176, v84 quad_perm:[0,0,0,0] row_mask:0xf bank_mask:0xf// 000000009264: 06A8A8FA FF0000B0
	v_subrev_f32_dpp v85, v176, v85 quad_perm:[1,1,1,1] row_mask:0xf bank_mask:0xf// 00000000926C: 06AAAAFA FF0055B0
	v_subrev_f32_dpp v86, v176, v86 quad_perm:[2,2,2,2] row_mask:0xf bank_mask:0xf// 000000009274: 06ACACFA FF00AAB0
	v_subrev_f32_dpp v87, v176, v87 quad_perm:[3,3,3,3] row_mask:0xf bank_mask:0xf// 00000000927C: 06AEAEFA FF00FFB0
	v_mfma_f32_16x16x16_bf16 v[188:191], v[128:129], v[164:165], v[188:191]// 000000009284: D3E100BC 06F34980
	v_mul_f32_e32 v76, v52, v76                                // 00000000928C: 0A989934
	v_mul_f32_e32 v77, v53, v77                                // 000000009290: 0A9A9B35
	v_mul_f32_e32 v78, v54, v78                                // 000000009294: 0A9C9D36
	v_mul_f32_e32 v79, v55, v79                                // 000000009298: 0A9E9F37
	v_mul_f32_e32 v80, v56, v80                                // 00000000929C: 0AA0A138
	v_mul_f32_e32 v81, v57, v81                                // 0000000092A0: 0AA2A339
	v_mfma_f32_16x16x16_bf16 v[192:195], v[130:131], v[164:165], v[192:195]// 0000000092A4: D3E100C0 07034982
	v_mul_f32_e32 v82, v58, v82                                // 0000000092AC: 0AA4A53A
	v_mul_f32_e32 v83, v59, v83                                // 0000000092B0: 0AA6A73B
	v_mul_f32_e32 v84, v60, v84                                // 0000000092B4: 0AA8A93C
	v_mul_f32_e32 v85, v61, v85                                // 0000000092B8: 0AAAAB3D
	v_mul_f32_e32 v86, v62, v86                                // 0000000092BC: 0AACAD3E
	v_mul_f32_e32 v87, v63, v87                                // 0000000092C0: 0AAEAF3F
	v_mfma_f32_16x16x16_bf16 v[196:199], v[124:125], v[166:167], v[196:199]// 0000000092C4: D3E100C4 07134D7C
	v_cmp_u_f32_e64 s[78:79], v76, v76                         // 0000000092CC: D048004E 0002994C
	v_bfe_u32 v228, v76, 16, 1                                 // 0000000092D4: D1C800E4 0205214C
	v_add3_u32 v228, v76, v228, v231                           // 0000000092DC: D1FF00E4 079FC94C
	v_cndmask_b32_e64 v32, v228, v230, s[78:79]                // 0000000092E4: D1000020 013BCDE4
	v_lshrrev_b32_e32 v32, 16, v32                             // 0000000092EC: 20404090
	v_cmp_u_f32_e64 s[78:79], v77, v77                         // 0000000092F0: D048004E 00029B4D
	v_bfe_u32 v228, v77, 16, 1                                 // 0000000092F8: D1C800E4 0205214D
	v_add3_u32 v228, v77, v228, v231                           // 000000009300: D1FF00E4 079FC94D
	v_cndmask_b32_e64 v33, v228, v230, s[78:79]                // 000000009308: D1000021 013BCDE4
	v_and_or_b32 v76, v33, v229, v32                           // 000000009310: D201004C 0483CB21
	v_cmp_u_f32_e64 s[78:79], v78, v78                         // 000000009318: D048004E 00029D4E
	v_bfe_u32 v228, v78, 16, 1                                 // 000000009320: D1C800E4 0205214E
	v_add3_u32 v228, v78, v228, v231                           // 000000009328: D1FF00E4 079FC94E
	v_cndmask_b32_e64 v32, v228, v230, s[78:79]                // 000000009330: D1000020 013BCDE4
	v_lshrrev_b32_e32 v32, 16, v32                             // 000000009338: 20404090
	v_cmp_u_f32_e64 s[78:79], v79, v79                         // 00000000933C: D048004E 00029F4F
	v_bfe_u32 v228, v79, 16, 1                                 // 000000009344: D1C800E4 0205214F
	v_add3_u32 v228, v79, v228, v231                           // 00000000934C: D1FF00E4 079FC94F
	v_cndmask_b32_e64 v33, v228, v230, s[78:79]                // 000000009354: D1000021 013BCDE4
	v_and_or_b32 v77, v33, v229, v32                           // 00000000935C: D201004D 0483CB21
	v_cmp_u_f32_e64 s[78:79], v80, v80                         // 000000009364: D048004E 0002A150
	v_bfe_u32 v228, v80, 16, 1                                 // 00000000936C: D1C800E4 02052150
	v_add3_u32 v228, v80, v228, v231                           // 000000009374: D1FF00E4 079FC950
	v_cndmask_b32_e64 v32, v228, v230, s[78:79]                // 00000000937C: D1000020 013BCDE4
	v_lshrrev_b32_e32 v32, 16, v32                             // 000000009384: 20404090
	v_cmp_u_f32_e64 s[78:79], v81, v81                         // 000000009388: D048004E 0002A351
	v_bfe_u32 v228, v81, 16, 1                                 // 000000009390: D1C800E4 02052151
	v_add3_u32 v228, v81, v228, v231                           // 000000009398: D1FF00E4 079FC951
	v_cndmask_b32_e64 v33, v228, v230, s[78:79]                // 0000000093A0: D1000021 013BCDE4
	v_and_or_b32 v78, v33, v229, v32                           // 0000000093A8: D201004E 0483CB21
	v_cmp_u_f32_e64 s[78:79], v82, v82                         // 0000000093B0: D048004E 0002A552
	v_bfe_u32 v228, v82, 16, 1                                 // 0000000093B8: D1C800E4 02052152
	v_add3_u32 v228, v82, v228, v231                           // 0000000093C0: D1FF00E4 079FC952
	v_cndmask_b32_e64 v32, v228, v230, s[78:79]                // 0000000093C8: D1000020 013BCDE4
	v_lshrrev_b32_e32 v32, 16, v32                             // 0000000093D0: 20404090
	v_cmp_u_f32_e64 s[78:79], v83, v83                         // 0000000093D4: D048004E 0002A753
	v_bfe_u32 v228, v83, 16, 1                                 // 0000000093DC: D1C800E4 02052153
	v_add3_u32 v228, v83, v228, v231                           // 0000000093E4: D1FF00E4 079FC953
	v_cndmask_b32_e64 v33, v228, v230, s[78:79]                // 0000000093EC: D1000021 013BCDE4
	v_and_or_b32 v79, v33, v229, v32                           // 0000000093F4: D201004F 0483CB21
	v_cmp_u_f32_e64 s[78:79], v84, v84                         // 0000000093FC: D048004E 0002A954
	v_bfe_u32 v228, v84, 16, 1                                 // 000000009404: D1C800E4 02052154
	v_add3_u32 v228, v84, v228, v231                           // 00000000940C: D1FF00E4 079FC954
	v_cndmask_b32_e64 v32, v228, v230, s[78:79]                // 000000009414: D1000020 013BCDE4
	v_lshrrev_b32_e32 v32, 16, v32                             // 00000000941C: 20404090
	v_cmp_u_f32_e64 s[78:79], v85, v85                         // 000000009420: D048004E 0002AB55
	v_bfe_u32 v228, v85, 16, 1                                 // 000000009428: D1C800E4 02052155
	v_add3_u32 v228, v85, v228, v231                           // 000000009430: D1FF00E4 079FC955
	v_cndmask_b32_e64 v33, v228, v230, s[78:79]                // 000000009438: D1000021 013BCDE4
	v_and_or_b32 v80, v33, v229, v32                           // 000000009440: D2010050 0483CB21
	v_cmp_u_f32_e64 s[78:79], v86, v86                         // 000000009448: D048004E 0002AD56
	v_bfe_u32 v228, v86, 16, 1                                 // 000000009450: D1C800E4 02052156
	v_add3_u32 v228, v86, v228, v231                           // 000000009458: D1FF00E4 079FC956
	v_cndmask_b32_e64 v32, v228, v230, s[78:79]                // 000000009460: D1000020 013BCDE4
	v_lshrrev_b32_e32 v32, 16, v32                             // 000000009468: 20404090
	v_cmp_u_f32_e64 s[78:79], v87, v87                         // 00000000946C: D048004E 0002AF57
	v_bfe_u32 v228, v87, 16, 1                                 // 000000009474: D1C800E4 02052157
	v_add3_u32 v228, v87, v228, v231                           // 00000000947C: D1FF00E4 079FC957
	v_cndmask_b32_e64 v33, v228, v230, s[78:79]                // 000000009484: D1000021 013BCDE4
	v_and_or_b32 v81, v33, v229, v32                           // 00000000948C: D2010051 0483CB21
	v_mfma_f32_16x16x16_bf16 v[200:203], v[126:127], v[166:167], v[200:203]// 000000009494: D3E100C8 07234D7E
	v_mov_b32_dpp v18, v76 quad_perm:[1,0,3,2] row_mask:0xf bank_mask:0xf// 00000000949C: 7E2402FA FF00B14C
	v_perm_b32 v52, v18, v76, v17                              // 0000000094A4: D1ED0034 04469912
	v_mov_b32_dpp v18, v77 quad_perm:[1,0,3,2] row_mask:0xf bank_mask:0xf// 0000000094AC: 7E2402FA FF00B14D
	v_perm_b32 v53, v18, v77, v17                              // 0000000094B4: D1ED0035 04469B12
	v_mov_b32_dpp v18, v78 quad_perm:[1,0,3,2] row_mask:0xf bank_mask:0xf// 0000000094BC: 7E2402FA FF00B14E
	v_perm_b32 v54, v18, v78, v17                              // 0000000094C4: D1ED0036 04469D12
	v_mfma_f32_16x16x16_bf16 v[204:207], v[128:129], v[166:167], v[204:207]// 0000000094CC: D3E100CC 07334D80
	ds_write_b32 v20, v52 offset:17408                         // 0000000094D4: D81A4400 00003414
	ds_write_b32 v20, v53 offset:17952                         // 0000000094DC: D81A4620 00003514
	v_mfma_f32_16x16x16_bf16 v[208:211], v[130:131], v[166:167], v[208:211]// 0000000094E4: D3E100D0 07434D82
	v_mov_b32_dpp v18, v79 quad_perm:[1,0,3,2] row_mask:0xf bank_mask:0xf// 0000000094EC: 7E2402FA FF00B14F
	v_perm_b32 v55, v18, v79, v17                              // 0000000094F4: D1ED0037 04469F12
	v_mov_b32_dpp v18, v80 quad_perm:[1,0,3,2] row_mask:0xf bank_mask:0xf// 0000000094FC: 7E2402FA FF00B150
	v_perm_b32 v56, v18, v80, v17                              // 000000009504: D1ED0038 0446A112
	v_mov_b32_dpp v18, v81 quad_perm:[1,0,3,2] row_mask:0xf bank_mask:0xf// 00000000950C: 7E2402FA FF00B151
	v_perm_b32 v57, v18, v81, v17                              // 000000009514: D1ED0039 0446A312
	v_mfma_f32_16x16x16_bf16 v[212:215], v[124:125], v[168:169], v[212:215]// 00000000951C: D3E100D4 0753517C
	ds_write_b32 v20, v54 offset:19712                         // 000000009524: D81A4D00 00003614
	ds_write_b32 v20, v55 offset:20256                         // 00000000952C: D81A4F20 00003714
	v_mfma_f32_16x16x16_bf16 v[216:219], v[126:127], v[168:169], v[216:219]// 000000009534: D3E100D8 0763517E
	v_subrev_f32_dpp v88, v177, v88 quad_perm:[0,0,0,0] row_mask:0xf bank_mask:0xf// 00000000953C: 06B0B0FA FF0000B1
	v_subrev_f32_dpp v89, v177, v89 quad_perm:[1,1,1,1] row_mask:0xf bank_mask:0xf// 000000009544: 06B2B2FA FF0055B1
	v_subrev_f32_dpp v90, v177, v90 quad_perm:[2,2,2,2] row_mask:0xf bank_mask:0xf// 00000000954C: 06B4B4FA FF00AAB1
	v_subrev_f32_dpp v91, v177, v91 quad_perm:[3,3,3,3] row_mask:0xf bank_mask:0xf// 000000009554: 06B6B6FA FF00FFB1
	v_subrev_f32_dpp v92, v177, v92 quad_perm:[0,0,0,0] row_mask:0xf bank_mask:0xf// 00000000955C: 06B8B8FA FF0000B1
	v_subrev_f32_dpp v93, v177, v93 quad_perm:[1,1,1,1] row_mask:0xf bank_mask:0xf// 000000009564: 06BABAFA FF0055B1
	v_mfma_f32_16x16x16_bf16 v[220:223], v[128:129], v[168:169], v[220:223]// 00000000956C: D3E100DC 07735180
	ds_write_b32 v20, v56 offset:22016                         // 000000009574: D81A5600 00003814
	ds_write_b32 v20, v57 offset:22560                         // 00000000957C: D81A5820 00003914
	v_mfma_f32_16x16x16_bf16 v[224:227], v[130:131], v[168:169], v[224:227]// 000000009584: D3E100E0 07835182
	v_subrev_f32_dpp v94, v177, v94 quad_perm:[2,2,2,2] row_mask:0xf bank_mask:0xf// 00000000958C: 06BCBCFA FF00AAB1
	v_subrev_f32_dpp v95, v177, v95 quad_perm:[3,3,3,3] row_mask:0xf bank_mask:0xf// 000000009594: 06BEBEFA FF00FFB1
	v_subrev_f32_dpp v96, v177, v96 quad_perm:[0,0,0,0] row_mask:0xf bank_mask:0xf// 00000000959C: 06C0C0FA FF0000B1
	v_subrev_f32_dpp v97, v177, v97 quad_perm:[1,1,1,1] row_mask:0xf bank_mask:0xf// 0000000095A4: 06C2C2FA FF0055B1
	v_subrev_f32_dpp v98, v177, v98 quad_perm:[2,2,2,2] row_mask:0xf bank_mask:0xf// 0000000095AC: 06C4C4FA FF00AAB1
	v_subrev_f32_dpp v99, v177, v99 quad_perm:[3,3,3,3] row_mask:0xf bank_mask:0xf// 0000000095B4: 06C6C6FA FF00FFB1
	v_mfma_f32_16x16x16_bf16 v[180:183], v[132:133], v[170:171], v[180:183]// 0000000095BC: D3E100B4 06D35584
	v_mul_f32_e32 v88, v64, v88                                // 0000000095C4: 0AB0B140
	v_mul_f32_e32 v89, v65, v89                                // 0000000095C8: 0AB2B341
	v_mul_f32_e32 v90, v66, v90                                // 0000000095CC: 0AB4B542
	v_mul_f32_e32 v91, v67, v91                                // 0000000095D0: 0AB6B743
	v_mul_f32_e32 v92, v68, v92                                // 0000000095D4: 0AB8B944
	v_mul_f32_e32 v93, v69, v93                                // 0000000095D8: 0ABABB45
	v_mfma_f32_16x16x16_bf16 v[184:187], v[134:135], v[170:171], v[184:187]// 0000000095DC: D3E100B8 06E35586
	v_mul_f32_e32 v94, v70, v94                                // 0000000095E4: 0ABCBD46
	v_mul_f32_e32 v95, v71, v95                                // 0000000095E8: 0ABEBF47
	v_mul_f32_e32 v96, v72, v96                                // 0000000095EC: 0AC0C148
	v_mul_f32_e32 v97, v73, v97                                // 0000000095F0: 0AC2C349
	v_mul_f32_e32 v98, v74, v98                                // 0000000095F4: 0AC4C54A
	v_mul_f32_e32 v99, v75, v99                                // 0000000095F8: 0AC6C74B
	v_mfma_f32_16x16x16_bf16 v[188:191], v[136:137], v[170:171], v[188:191]// 0000000095FC: D3E100BC 06F35588
	v_cmp_u_f32_e64 s[78:79], v88, v88                         // 000000009604: D048004E 0002B158
	v_bfe_u32 v228, v88, 16, 1                                 // 00000000960C: D1C800E4 02052158
	v_add3_u32 v228, v88, v228, v231                           // 000000009614: D1FF00E4 079FC958
	v_cndmask_b32_e64 v32, v228, v230, s[78:79]                // 00000000961C: D1000020 013BCDE4
	v_lshrrev_b32_e32 v32, 16, v32                             // 000000009624: 20404090
	v_cmp_u_f32_e64 s[78:79], v89, v89                         // 000000009628: D048004E 0002B359
	v_bfe_u32 v228, v89, 16, 1                                 // 000000009630: D1C800E4 02052159
	v_add3_u32 v228, v89, v228, v231                           // 000000009638: D1FF00E4 079FC959
	v_cndmask_b32_e64 v33, v228, v230, s[78:79]                // 000000009640: D1000021 013BCDE4
	v_and_or_b32 v82, v33, v229, v32                           // 000000009648: D2010052 0483CB21
	v_cmp_u_f32_e64 s[78:79], v90, v90                         // 000000009650: D048004E 0002B55A
	v_bfe_u32 v228, v90, 16, 1                                 // 000000009658: D1C800E4 0205215A
	v_add3_u32 v228, v90, v228, v231                           // 000000009660: D1FF00E4 079FC95A
	v_cndmask_b32_e64 v32, v228, v230, s[78:79]                // 000000009668: D1000020 013BCDE4
	v_lshrrev_b32_e32 v32, 16, v32                             // 000000009670: 20404090
	v_cmp_u_f32_e64 s[78:79], v91, v91                         // 000000009674: D048004E 0002B75B
	v_bfe_u32 v228, v91, 16, 1                                 // 00000000967C: D1C800E4 0205215B
	v_add3_u32 v228, v91, v228, v231                           // 000000009684: D1FF00E4 079FC95B
	v_cndmask_b32_e64 v33, v228, v230, s[78:79]                // 00000000968C: D1000021 013BCDE4
	v_and_or_b32 v83, v33, v229, v32                           // 000000009694: D2010053 0483CB21
	v_cmp_u_f32_e64 s[78:79], v92, v92                         // 00000000969C: D048004E 0002B95C
	v_bfe_u32 v228, v92, 16, 1                                 // 0000000096A4: D1C800E4 0205215C
	v_add3_u32 v228, v92, v228, v231                           // 0000000096AC: D1FF00E4 079FC95C
	v_cndmask_b32_e64 v32, v228, v230, s[78:79]                // 0000000096B4: D1000020 013BCDE4
	v_lshrrev_b32_e32 v32, 16, v32                             // 0000000096BC: 20404090
	v_cmp_u_f32_e64 s[78:79], v93, v93                         // 0000000096C0: D048004E 0002BB5D
	v_bfe_u32 v228, v93, 16, 1                                 // 0000000096C8: D1C800E4 0205215D
	v_add3_u32 v228, v93, v228, v231                           // 0000000096D0: D1FF00E4 079FC95D
	v_cndmask_b32_e64 v33, v228, v230, s[78:79]                // 0000000096D8: D1000021 013BCDE4
	v_and_or_b32 v84, v33, v229, v32                           // 0000000096E0: D2010054 0483CB21
	v_cmp_u_f32_e64 s[78:79], v94, v94                         // 0000000096E8: D048004E 0002BD5E
	v_bfe_u32 v228, v94, 16, 1                                 // 0000000096F0: D1C800E4 0205215E
	v_add3_u32 v228, v94, v228, v231                           // 0000000096F8: D1FF00E4 079FC95E
	v_cndmask_b32_e64 v32, v228, v230, s[78:79]                // 000000009700: D1000020 013BCDE4
	v_lshrrev_b32_e32 v32, 16, v32                             // 000000009708: 20404090
	v_cmp_u_f32_e64 s[78:79], v95, v95                         // 00000000970C: D048004E 0002BF5F
	v_bfe_u32 v228, v95, 16, 1                                 // 000000009714: D1C800E4 0205215F
	v_add3_u32 v228, v95, v228, v231                           // 00000000971C: D1FF00E4 079FC95F
	v_cndmask_b32_e64 v33, v228, v230, s[78:79]                // 000000009724: D1000021 013BCDE4
	v_and_or_b32 v85, v33, v229, v32                           // 00000000972C: D2010055 0483CB21
	v_cmp_u_f32_e64 s[78:79], v96, v96                         // 000000009734: D048004E 0002C160
	v_bfe_u32 v228, v96, 16, 1                                 // 00000000973C: D1C800E4 02052160
	v_add3_u32 v228, v96, v228, v231                           // 000000009744: D1FF00E4 079FC960
	v_cndmask_b32_e64 v32, v228, v230, s[78:79]                // 00000000974C: D1000020 013BCDE4
	v_lshrrev_b32_e32 v32, 16, v32                             // 000000009754: 20404090
	v_cmp_u_f32_e64 s[78:79], v97, v97                         // 000000009758: D048004E 0002C361
	v_bfe_u32 v228, v97, 16, 1                                 // 000000009760: D1C800E4 02052161
	v_add3_u32 v228, v97, v228, v231                           // 000000009768: D1FF00E4 079FC961
	v_cndmask_b32_e64 v33, v228, v230, s[78:79]                // 000000009770: D1000021 013BCDE4
	v_and_or_b32 v86, v33, v229, v32                           // 000000009778: D2010056 0483CB21
	v_cmp_u_f32_e64 s[78:79], v98, v98                         // 000000009780: D048004E 0002C562
	v_bfe_u32 v228, v98, 16, 1                                 // 000000009788: D1C800E4 02052162
	v_add3_u32 v228, v98, v228, v231                           // 000000009790: D1FF00E4 079FC962
	v_cndmask_b32_e64 v32, v228, v230, s[78:79]                // 000000009798: D1000020 013BCDE4
	v_lshrrev_b32_e32 v32, 16, v32                             // 0000000097A0: 20404090
	v_cmp_u_f32_e64 s[78:79], v99, v99                         // 0000000097A4: D048004E 0002C763
	v_bfe_u32 v228, v99, 16, 1                                 // 0000000097AC: D1C800E4 02052163
	v_add3_u32 v228, v99, v228, v231                           // 0000000097B4: D1FF00E4 079FC963
	v_cndmask_b32_e64 v33, v228, v230, s[78:79]                // 0000000097BC: D1000021 013BCDE4
	v_and_or_b32 v87, v33, v229, v32                           // 0000000097C4: D2010057 0483CB21
	v_mfma_f32_16x16x16_bf16 v[192:195], v[138:139], v[170:171], v[192:195]// 0000000097CC: D3E100C0 0703558A
	v_mov_b32_dpp v18, v82 quad_perm:[1,0,3,2] row_mask:0xf bank_mask:0xf// 0000000097D4: 7E2402FA FF00B152
	v_perm_b32 v58, v18, v82, v17                              // 0000000097DC: D1ED003A 0446A512
	v_mov_b32_dpp v18, v83 quad_perm:[1,0,3,2] row_mask:0xf bank_mask:0xf// 0000000097E4: 7E2402FA FF00B153
	v_perm_b32 v59, v18, v83, v17                              // 0000000097EC: D1ED003B 0446A712
	v_mov_b32_dpp v18, v84 quad_perm:[1,0,3,2] row_mask:0xf bank_mask:0xf// 0000000097F4: 7E2402FA FF00B154
	v_perm_b32 v60, v18, v84, v17                              // 0000000097FC: D1ED003C 0446A912
	v_mfma_f32_16x16x16_bf16 v[196:199], v[132:133], v[172:173], v[196:199]// 000000009804: D3E100C4 07135984
	ds_write_b32 v20, v58 offset:24320                         // 00000000980C: D81A5F00 00003A14
	ds_write_b32 v20, v59 offset:24864                         // 000000009814: D81A6120 00003B14
	v_mfma_f32_16x16x16_bf16 v[200:203], v[134:135], v[172:173], v[200:203]// 00000000981C: D3E100C8 07235986
	v_mov_b32_dpp v18, v85 quad_perm:[1,0,3,2] row_mask:0xf bank_mask:0xf// 000000009824: 7E2402FA FF00B155
	v_perm_b32 v61, v18, v85, v17                              // 00000000982C: D1ED003D 0446AB12
	v_mov_b32_dpp v18, v86 quad_perm:[1,0,3,2] row_mask:0xf bank_mask:0xf// 000000009834: 7E2402FA FF00B156
	v_perm_b32 v62, v18, v86, v17                              // 00000000983C: D1ED003E 0446AD12
	v_mov_b32_dpp v18, v87 quad_perm:[1,0,3,2] row_mask:0xf bank_mask:0xf// 000000009844: 7E2402FA FF00B157
	v_perm_b32 v63, v18, v87, v17                              // 00000000984C: D1ED003F 0446AF12
	v_mfma_f32_16x16x16_bf16 v[204:207], v[136:137], v[172:173], v[204:207]// 000000009854: D3E100CC 07335988
	ds_write_b32 v20, v60 offset:26624                         // 00000000985C: D81A6800 00003C14
	ds_write_b32 v20, v61 offset:27168                         // 000000009864: D81A6A20 00003D14
	ds_write_b32 v20, v62 offset:28928                         // 00000000986C: D81A7100 00003E14
	ds_write_b32 v20, v63 offset:29472                         // 000000009874: D81A7320 00003F14
	v_mfma_f32_16x16x16_bf16 v[208:211], v[138:139], v[172:173], v[208:211]// 00000000987C: D3E100D0 0743598A
	v_mfma_f32_16x16x16_bf16 v[212:215], v[132:133], v[174:175], v[212:215]// 000000009884: D3E100D4 07535D84
	ds_write_b32 v15, v100 offset:4352                         // 00000000988C: D81A1100 0000640F
	ds_write_b32 v15, v101 offset:5408                         // 000000009894: D81A1520 0000650F
	v_mfma_f32_16x16x16_bf16 v[216:219], v[134:135], v[174:175], v[216:219]// 00000000989C: D3E100D8 07635D86
	v_mfma_f32_16x16x16_bf16 v[220:223], v[136:137], v[174:175], v[220:223]// 0000000098A4: D3E100DC 07735D88
	ds_write_b32 v15, v102 offset:6528                         // 0000000098AC: D81A1980 0000660F
	ds_write_b32 v15, v103 offset:7584                         // 0000000098B4: D81A1DA0 0000670F
	v_mfma_f32_16x16x16_bf16 v[224:227], v[138:139], v[174:175], v[224:227]// 0000000098BC: D3E100E0 07835D8A
	s_nop 0                                                    // 0000000098C4: BF800000
	s_nop 0                                                    // 0000000098C8: BF800000
	s_nop 0                                                    // 0000000098CC: BF800000
	s_barrier                                                  // 0000000098D0: BF8A0000
	v_mfma_f32_16x16x16_bf16 a[112:115], a[96:97], v[76:77], a[112:115]// 0000000098D4: D3E18070 0DC29960
	ds_read_b32 v140, v23 offset:39936                         // 0000000098DC: D86C9C00 8C000017
	ds_read_b32 v144, v23 offset:40000                         // 0000000098E4: D86C9C40 90000017
	ds_read_b32 v176, v23 offset:40192                         // 0000000098EC: D86C9D00 B0000017
	ds_read_b32 v177, v23 offset:40256                         // 0000000098F4: D86C9D40 B1000017
	v_mfma_f32_16x16x16_bf16 a[116:119], a[98:99], v[76:77], a[116:119]// 0000000098FC: D3E18074 0DD29962
	buffer_atomic_add_f32 v156, v6, s[32:35], 0 idxen          // 000000009904: E1342000 80089C06
	v_mfma_f32_16x16x16_bf16 a[120:123], a[100:101], v[76:77], a[120:123]// 00000000990C: D3E18078 0DE29964
	s_waitcnt lgkmcnt(8)                                       // 000000009914: BF8CC87F
	s_barrier                                                  // 000000009918: BF8A0000
	v_mfma_f32_16x16x16_bf16 a[124:127], a[102:103], v[76:77], a[124:127]// 00000000991C: D3E1807C 0DF29966
	v_mfma_f32_16x16x16_bf16 a[128:131], a[96:97], v[78:79], a[128:131]// 000000009924: D3E18080 0E029D60
	ds_read_b128 v[52:55], v19 offset:17408                    // 00000000992C: D9FE4400 34000013
	v_mfma_f32_16x16x16_bf16 a[132:135], a[98:99], v[78:79], a[132:135]// 000000009934: D3E18084 0E129D62
	v_mfma_f32_16x16x16_bf16 a[136:139], a[100:101], v[78:79], a[136:139]// 00000000993C: D3E18088 0E229D64
	ds_read_b128 v[56:59], v19 offset:18560                    // 000000009944: D9FE4880 38000013
	v_mfma_f32_16x16x16_bf16 a[140:143], a[102:103], v[78:79], a[140:143]// 00000000994C: D3E1808C 0E329D66
	buffer_atomic_add_f32 v157, v7, s[32:35], 0 idxen          // 000000009954: E1342000 80089D07
	v_mfma_f32_16x16x16_bf16 a[144:147], a[96:97], v[80:81], a[144:147]// 00000000995C: D3E18090 0E42A160
	ds_read_b128 v[60:63], v19 offset:19712                    // 000000009964: D9FE4D00 3C000013
	v_mfma_f32_16x16x16_bf16 a[148:151], a[98:99], v[80:81], a[148:151]// 00000000996C: D3E18094 0E52A162
	v_mfma_f32_16x16x16_bf16 a[152:155], a[100:101], v[80:81], a[152:155]// 000000009974: D3E18098 0E62A164
	ds_read_b128 v[64:67], v19 offset:20864                    // 00000000997C: D9FE5180 40000013
	v_mfma_f32_16x16x16_bf16 a[156:159], a[102:103], v[80:81], a[156:159]// 000000009984: D3E1809C 0E72A166
	v_mfma_f32_16x16x16_bf16 a[112:115], a[104:105], v[82:83], a[112:115]// 00000000998C: D3E18070 0DC2A568
	ds_read_b128 v[68:71], v19 offset:22016                    // 000000009994: D9FE5600 44000013
	v_mfma_f32_16x16x16_bf16 a[116:119], a[106:107], v[82:83], a[116:119]// 00000000999C: D3E18074 0DD2A56A
	buffer_atomic_add_f32 v158, v6, s[32:35], 0 idxen offset:128// 0000000099A4: E1342080 80089E06
	v_mfma_f32_16x16x16_bf16 a[120:123], a[108:109], v[82:83], a[120:123]// 0000000099AC: D3E18078 0DE2A56C
	ds_read_b128 v[72:75], v19 offset:23168                    // 0000000099B4: D9FE5A80 48000013
	v_mfma_f32_16x16x16_bf16 a[124:127], a[110:111], v[82:83], a[124:127]// 0000000099BC: D3E1807C 0DF2A56E
	v_mfma_f32_16x16x16_bf16 a[128:131], a[104:105], v[84:85], a[128:131]// 0000000099C4: D3E18080 0E02A968
	ds_write_b32 v15, v104 offset:13056                        // 0000000099CC: D81A3300 0000680F
	v_mfma_f32_16x16x16_bf16 a[132:135], a[106:107], v[84:85], a[132:135]// 0000000099D4: D3E18084 0E12A96A
	v_mfma_f32_16x16x16_bf16 a[136:139], a[108:109], v[84:85], a[136:139]// 0000000099DC: D3E18088 0E22A96C
	ds_write_b32 v15, v105 offset:14112                        // 0000000099E4: D81A3720 0000690F
	v_mfma_f32_16x16x16_bf16 a[140:143], a[110:111], v[84:85], a[140:143]// 0000000099EC: D3E1808C 0E32A96E
	buffer_atomic_add_f32 v159, v7, s[32:35], 0 idxen offset:128// 0000000099F4: E1342080 80089F07
	v_mfma_f32_16x16x16_bf16 a[144:147], a[104:105], v[86:87], a[144:147]// 0000000099FC: D3E18090 0E42AD68
	ds_write_b32 v15, v106 offset:15232                        // 000000009A04: D81A3B80 00006A0F
	v_mfma_f32_16x16x16_bf16 a[148:151], a[106:107], v[86:87], a[148:151]// 000000009A0C: D3E18094 0E52AD6A
	v_mfma_f32_16x16x16_bf16 a[152:155], a[108:109], v[86:87], a[152:155]// 000000009A14: D3E18098 0E62AD6C
	ds_write_b32 v15, v107 offset:16288                        // 000000009A1C: D81A3FA0 00006B0F
	v_mfma_f32_16x16x16_bf16 a[156:159], a[110:111], v[86:87], a[156:159]// 000000009A24: D3E1809C 0E72AD6E
	s_waitcnt vmcnt(8) lgkmcnt(4)                              // 000000009A2C: BF8C0478
	s_barrier                                                  // 000000009A30: BF8A0000
	v_mfma_f32_16x16x16_bf16 v[148:151], v[52:53], a[24:25], 0 // 000000009A34: D3E10094 12023134
	ds_read_b128 a[96:99], v12                                 // 000000009A3C: DBFE0000 6000000C
	buffer_load_dword v40, v1, s[8:11], 0 idxen                // 000000009A44: E0502000 80022801
	v_mfma_f32_16x16x16_bf16 v[148:151], v[54:55], a[28:29], v[148:151]// 000000009A4C: D3E10094 16523936
	v_mul_f32_e32 v140, s48, v140                              // 000000009A54: 0B191830
	v_mul_f32_e32 v144, s48, v144                              // 000000009A58: 0B212030
	s_nop 0                                                    // 000000009A5C: BF800000
	v_mfma_f32_16x16x16_bf16 v[148:151], v[56:57], a[32:33], v[148:151]// 000000009A60: D3E10094 16524138
	ds_read_b128 a[100:103], v12 offset:512                    // 000000009A68: DBFE0200 6400000C
	buffer_load_dword v41, v2, s[8:11], 0 idxen                // 000000009A70: E0502000 80022902
	v_mfma_f32_16x16x16_bf16 v[148:151], v[58:59], a[36:37], v[148:151]// 000000009A78: D3E10094 1652493A
	v_mfma_f32_16x16x16_bf16 v[148:151], v[60:61], a[40:41], v[148:151]// 000000009A80: D3E10094 1652513C
	ds_read_b128 a[104:107], v12 offset:2176                   // 000000009A88: DBFE0880 6800000C
	buffer_load_dword v42, v3, s[8:11], 0 idxen                // 000000009A90: E0502000 80022A03
	v_mfma_f32_16x16x16_bf16 v[148:151], v[62:63], a[44:45], v[148:151]// 000000009A98: D3E10094 1652593E
	v_perm_b32 v100, v37, v36, s63                             // 000000009AA0: D1ED0064 00FE4925
	v_perm_b32 v101, v37, v36, s64                             // 000000009AA8: D1ED0065 01024925
	v_mfma_f32_16x16x16_bf16 v[148:151], v[64:65], a[48:49], v[148:151]// 000000009AB0: D3E10094 16526140
	ds_read_b128 a[108:111], v12 offset:2688                   // 000000009AB8: DBFE0A80 6C00000C
	buffer_load_dword v43, v4, s[8:11], 0 idxen                // 000000009AC0: E0502000 80022B04
	v_mfma_f32_16x16x16_bf16 v[148:151], v[66:67], a[52:53], v[148:151]// 000000009AC8: D3E10094 16526942
	v_perm_b32 v102, v39, v38, s63                             // 000000009AD0: D1ED0066 00FE4D27
	v_perm_b32 v103, v39, v38, s64                             // 000000009AD8: D1ED0067 01024D27
	v_mfma_f32_16x16x16_bf16 v[148:151], v[68:69], a[56:57], v[148:151]// 000000009AE0: D3E10094 16527144
	ds_read_b128 v[108:111], v12 offset:8704                   // 000000009AE8: D9FE2200 6C00000C
	buffer_load_dword v48, v232, s[20:23], 0 idxen             // 000000009AF0: E0502000 800530E8
	v_mfma_f32_16x16x16_bf16 v[148:151], v[70:71], a[60:61], v[148:151]// 000000009AF8: D3E10094 16527946
	v_perm_b32 v104, v45, v44, s63                             // 000000009B00: D1ED0068 00FE592D
	v_perm_b32 v105, v45, v44, s64                             // 000000009B08: D1ED0069 0102592D
	v_mfma_f32_16x16x16_bf16 v[148:151], v[72:73], a[64:65], v[148:151]// 000000009B10: D3E10094 16528148
	ds_read_b128 v[112:115], v12 offset:9216                   // 000000009B18: D9FE2400 7000000C
	buffer_load_dword v49, v233, s[20:23], 0 idxen             // 000000009B20: E0502000 800531E9
	v_mfma_f32_16x16x16_bf16 v[148:151], v[74:75], a[68:69], v[148:151]// 000000009B28: D3E10094 1652894A
	v_perm_b32 v106, v47, v46, s63                             // 000000009B30: D1ED006A 00FE5D2F
	v_perm_b32 v107, v47, v46, s64                             // 000000009B38: D1ED006B 01025D2F
	v_mfma_f32_16x16x16_bf16 v[152:155], v[52:53], a[26:27], 0 // 000000009B40: D3E10098 12023534
	ds_read_b128 v[116:119], v12 offset:10880                  // 000000009B48: D9FE2A80 7400000C
	buffer_load_dword v50, v234, s[20:23], 0 idxen             // 000000009B50: E0502000 800532EA
	v_mfma_f32_16x16x16_bf16 v[152:155], v[54:55], a[30:31], v[152:155]// 000000009B58: D3E10098 16623D36
	v_mov_b32_dpp v143, v140 quad_perm:[3,3,3,3] row_mask:0xf bank_mask:0xf// 000000009B60: 7F1E02FA FF00FF8C
	v_mov_b32_dpp v142, v140 quad_perm:[2,2,2,2] row_mask:0xf bank_mask:0xf// 000000009B68: 7F1C02FA FF00AA8C
	v_mov_b32_dpp v141, v140 quad_perm:[1,1,1,1] row_mask:0xf bank_mask:0xf// 000000009B70: 7F1A02FA FF00558C
	v_mov_b32_dpp v140, v140 quad_perm:[0,0,0,0] row_mask:0xf bank_mask:0xf// 000000009B78: 7F1802FA FF00008C
	v_mfma_f32_16x16x16_bf16 v[152:155], v[56:57], a[34:35], v[152:155]// 000000009B80: D3E10098 16624538
	ds_read_b128 v[120:123], v12 offset:11392                  // 000000009B88: D9FE2C80 7800000C
	buffer_load_dword v51, v235, s[20:23], 0 idxen             // 000000009B90: E0502000 800533EB
	v_mfma_f32_16x16x16_bf16 v[152:155], v[58:59], a[38:39], v[152:155]// 000000009B98: D3E10098 16624D3A
	v_mov_b32_dpp v147, v144 quad_perm:[3,3,3,3] row_mask:0xf bank_mask:0xf// 000000009BA0: 7F2602FA FF00FF90
	v_mov_b32_dpp v146, v144 quad_perm:[2,2,2,2] row_mask:0xf bank_mask:0xf// 000000009BA8: 7F2402FA FF00AA90
	v_mov_b32_dpp v145, v144 quad_perm:[1,1,1,1] row_mask:0xf bank_mask:0xf// 000000009BB0: 7F2202FA FF005590
	v_mov_b32_dpp v144, v144 quad_perm:[0,0,0,0] row_mask:0xf bank_mask:0xf// 000000009BB8: 7F2002FA FF000090
	s_add_u32 s60, 0x80, s59                                   // 000000009BC0: 803C3BFF 00000080
	v_mfma_f32_16x16x16_bf16 v[152:155], v[60:61], a[42:43], v[152:155]// 000000009BC8: D3E10098 1662553C
	buffer_load_dword v11, s[24:27], 0 idxen lds               // 000000009BD0: E0512000 8006000B
	v_mfma_f32_16x16x16_bf16 v[152:155], v[62:63], a[46:47], v[152:155]// 000000009BD8: D3E10098 16625D3E
	s_cmp_lt_u32 s60, s58                                      // 000000009BE0: BF0A3A3C
	s_cselect_b32 s68, s68, 0                                  // 000000009BE4: 85448044
	s_cselect_b32 s99, s99, 0                                  // 000000009BE8: 85638063
	s_cselect_b32 s69, s69, 0                                  // 000000009BEC: 85458045
	v_mfma_f32_16x16x16_bf16 v[152:155], v[64:65], a[50:51], v[152:155]// 000000009BF0: D3E10098 16626540
	v_add_u32_e32 v1, s68, v1                                  // 000000009BF8: 68020244
	v_add_u32_e32 v2, s68, v2                                  // 000000009BFC: 68040444
	v_add_u32_e32 v3, s68, v3                                  // 000000009C00: 68060644
	v_add_u32_e32 v4, s68, v4                                  // 000000009C04: 68080844
	v_mfma_f32_16x16x16_bf16 v[152:155], v[66:67], a[54:55], v[152:155]// 000000009C08: D3E10098 16626D42
	v_add_u32_e32 v232, s99, v232                              // 000000009C10: 69D1D063
	v_add_u32_e32 v233, s99, v233                              // 000000009C14: 69D3D263
	v_add_u32_e32 v234, s99, v234                              // 000000009C18: 69D5D463
	v_add_u32_e32 v235, s99, v235                              // 000000009C1C: 69D7D663
	v_mfma_f32_16x16x16_bf16 v[152:155], v[68:69], a[58:59], v[152:155]// 000000009C20: D3E10098 16627544
	s_mov_b32 m0, s80                                          // 000000009C28: BEFC0050
	v_add_u32_e32 v11, s69, v11                                // 000000009C2C: 68161645
	v_mfma_f32_16x16x16_bf16 v[152:155], v[70:71], a[62:63], v[152:155]// 000000009C30: D3E10098 16627D46
	s_cmp_ge_u32 s59, s73                                      // 000000009C38: BF09493B
	s_cselect_b32 s66, s67, s66                                // 000000009C3C: 85424243
	v_mfma_f32_16x16x16_bf16 v[152:155], v[72:73], a[66:67], v[152:155]// 000000009C40: D3E10098 16628548
	s_addk_i32 s59, 0x20                                       // 000000009C48: B73B0020
	s_nop 0                                                    // 000000009C4C: BF800000
	s_cmp_lt_i32 s59, s58                                      // 000000009C50: BF043A3B
	v_mfma_f32_16x16x16_bf16 v[152:155], v[74:75], a[70:71], v[152:155]// 000000009C54: D3E10098 16628D4A
	s_cbranch_scc0 label_11E5                                  // 000000009C5C: BF84FA3B
	s_waitcnt lgkmcnt(0)                                       // 000000009C60: BF8CC07F
	s_barrier                                                  // 000000009C64: BF8A0000
	v_mfma_f32_16x16x16_bf16 v[52:55], a[96:97], a[0:1], 0     // 000000009C68: D3E10034 1A020160
	v_mul_f32_e32 v148, s47, v148                              // 000000009C70: 0B29282F
	v_mul_f32_e32 v149, s47, v149                              // 000000009C74: 0B2B2A2F
	v_mfma_f32_16x16x16_bf16 v[52:55], a[98:99], a[2:3], v[52:55]// 000000009C78: D3E10034 1CD20562
	ds_write_b32 v13, v44 offset:8704                          // 000000009C80: D81A2200 00002C0D
	ds_write_b32 v13, v45 offset:9760                          // 000000009C88: D81A2620 00002D0D
	v_mfma_f32_16x16x16_bf16 v[52:55], a[100:101], a[4:5], v[52:55]// 000000009C90: D3E10034 1CD20964
	v_mul_f32_e32 v150, s47, v150                              // 000000009C98: 0B2D2C2F
	v_mul_f32_e32 v151, s47, v151                              // 000000009C9C: 0B2F2E2F
	v_mfma_f32_16x16x16_bf16 v[52:55], a[102:103], a[6:7], v[52:55]// 000000009CA0: D3E10034 1CD20D66
	ds_write_b32 v13, v46 offset:10880                         // 000000009CA8: D81A2A80 00002E0D
	ds_write_b32 v13, v47 offset:11936                         // 000000009CB0: D81A2EA0 00002F0D
	v_mfma_f32_16x16x16_bf16 v[56:59], a[96:97], a[8:9], 0     // 000000009CB8: D3E10038 1A021160
	v_mul_f32_e32 v152, s47, v152                              // 000000009CC0: 0B31302F
	v_mul_f32_e32 v153, s47, v153                              // 000000009CC4: 0B33322F
	v_mfma_f32_16x16x16_bf16 v[56:59], a[98:99], a[10:11], v[56:59]// 000000009CC8: D3E10038 1CE21562
	ds_write_b64 v22, v[148:149] offset:31232                  // 000000009CD0: D89A7A00 00009416
	v_mfma_f32_16x16x16_bf16 v[56:59], a[100:101], a[12:13], v[56:59]// 000000009CD8: D3E10038 1CE21964
	v_mul_f32_e32 v154, s47, v154                              // 000000009CE0: 0B35342F
	v_mul_f32_e32 v155, s47, v155                              // 000000009CE4: 0B37362F
	v_mfma_f32_16x16x16_bf16 v[56:59], a[102:103], a[14:15], v[56:59]// 000000009CE8: D3E10038 1CE21D66
	ds_write_b64 v22, v[150:151] offset:31744                  // 000000009CF0: D89A7C00 00009616
	v_mfma_f32_16x16x16_bf16 v[60:63], a[96:97], a[16:17], 0   // 000000009CF8: D3E1003C 1A022160
	buffer_atomic_add_f32 v160, v8, s[32:35], 0 idxen          // 000000009D00: E1342000 8008A008
	v_mfma_f32_16x16x16_bf16 v[60:63], a[98:99], a[18:19], v[60:63]// 000000009D08: D3E1003C 1CF22562
	ds_write_b64 v22, v[152:153] offset:32256                  // 000000009D10: D89A7E00 00009816
	v_mfma_f32_16x16x16_bf16 v[60:63], a[100:101], a[20:21], v[60:63]// 000000009D18: D3E1003C 1CF22964
	v_mfma_f32_16x16x16_bf16 v[60:63], a[102:103], a[22:23], v[60:63]// 000000009D20: D3E1003C 1CF22D66
	ds_write_b64 v22, v[154:155] offset:32768                  // 000000009D28: D89A8000 00009A16
	v_mfma_f32_16x16x16_bf16 v[64:67], a[104:105], a[0:1], 0   // 000000009D30: D3E10040 1A020168
	buffer_atomic_add_f32 v161, v9, s[32:35], 0 idxen          // 000000009D38: E1342000 8008A109
	v_mfma_f32_16x16x16_bf16 v[64:67], a[106:107], a[2:3], v[64:67]// 000000009D40: D3E10040 1D02056A
	ds_read_b128 v[124:127], v14 offset:13056                  // 000000009D48: D9FE3300 7C00000E
	ds_write_b32 v13, v36                                      // 000000009D50: D81A0000 0000240D
	v_mfma_f32_16x16x16_bf16 v[64:67], a[108:109], a[4:5], v[64:67]// 000000009D58: D3E10040 1D02096C
	v_mfma_f32_16x16x16_bf16 v[64:67], a[110:111], a[6:7], v[64:67]// 000000009D60: D3E10040 1D020D6E
	v_mfma_f32_16x16x16_bf16 v[68:71], a[104:105], a[8:9], 0   // 000000009D68: D3E10044 1A021168
	ds_read_b128 v[128:131], v14 offset:13568                  // 000000009D70: D9FE3500 8000000E
	ds_write_b32 v13, v37 offset:1056                          // 000000009D78: D81A0420 0000250D
	v_mfma_f32_16x16x16_bf16 v[68:71], a[106:107], a[10:11], v[68:71]// 000000009D80: D3E10044 1D12156A
	buffer_atomic_add_f32 v162, v8, s[32:35], 0 idxen offset:128// 000000009D88: E1342080 8008A208
	v_mfma_f32_16x16x16_bf16 v[68:71], a[108:109], a[12:13], v[68:71]// 000000009D90: D3E10044 1D12196C
	v_mfma_f32_16x16x16_bf16 v[68:71], a[110:111], a[14:15], v[68:71]// 000000009D98: D3E10044 1D121D6E
	ds_read_b128 v[132:135], v14 offset:15232                  // 000000009DA0: D9FE3B80 8400000E
	ds_write_b32 v13, v38 offset:2176                          // 000000009DA8: D81A0880 0000260D
	v_mfma_f32_16x16x16_bf16 v[72:75], a[104:105], a[16:17], 0 // 000000009DB0: D3E10048 1A022168
	v_mfma_f32_16x16x16_bf16 v[72:75], a[106:107], a[18:19], v[72:75]// 000000009DB8: D3E10048 1D22256A
	buffer_atomic_add_f32 v163, v9, s[32:35], 0 idxen offset:128// 000000009DC0: E1342080 8008A309
	v_mfma_f32_16x16x16_bf16 v[72:75], a[108:109], a[20:21], v[72:75]// 000000009DC8: D3E10048 1D22296C
	ds_read_b128 v[136:139], v14 offset:15744                  // 000000009DD0: D9FE3D80 8800000E
	ds_write_b32 v13, v39 offset:3232                          // 000000009DD8: D81A0CA0 0000270D
	v_mfma_f32_16x16x16_bf16 v[72:75], a[110:111], a[22:23], v[72:75]// 000000009DE0: D3E10048 1D222D6E
	s_cmp_lt_i32 s74, 12                                       // 000000009DE8: BF048C4A
	s_cbranch_scc0 label_18FD                                  // 000000009DEC: BF8400E6
	s_mov_b32 s60, 0xffe0fffe                                  // 000000009DF0: BEBC00FF FFE0FFFE
	s_mov_b32 s61, 0xe000fe00                                  // 000000009DF8: BEBD00FF E000FE00
	s_nop 0                                                    // 000000009E00: BF800000
	s_add_u32 s62, 0, s46                                      // 000000009E04: 803E2E80
	s_cmp_lt_i32 s74, s62                                      // 000000009E08: BF043E4A
	s_cbranch_scc1 label_1847                                  // 000000009E0C: BF850028
	s_cmp_eq_i32 s74, s62                                      // 000000009E10: BF003E4A
	s_cbranch_scc1 label_182C                                  // 000000009E14: BF85000B
	s_add_u32 s62, 4, s46                                      // 000000009E18: 803E2E84
	s_cmp_lt_i32 s74, s62                                      // 000000009E1C: BF043E4A
	s_cbranch_scc1 label_1867                                  // 000000009E20: BF850043
	s_cmp_eq_i32 s74, s62                                      // 000000009E24: BF003E4A
	s_cbranch_scc1 label_184C                                  // 000000009E28: BF850026
	s_add_u32 s62, 8, s46                                      // 000000009E2C: 803E2E88
	s_cmp_lt_i32 s74, s62                                      // 000000009E30: BF043E4A
	s_cbranch_scc1 label_1887                                  // 000000009E34: BF85005E
	s_cmp_eq_i32 s74, s62                                      // 000000009E38: BF003E4A
	s_cbranch_scc1 label_186C                                  // 000000009E3C: BF850041
	s_branch label_188C                                        // 000000009E40: BF820060

0000000000009e44 <label_182C>:
	v_cndmask_b32_e64 v52, v52, v178, s[60:61]                 // 000000009E44: D1000034 00F36534
	s_lshl_b32 s60, s60, 1                                     // 000000009E4C: 8E3C813C
	s_lshl_b32 s61, s61, 1                                     // 000000009E50: 8E3D813D
	s_and_b32 s60, 0xfffeffff, s60                             // 000000009E54: 863C3CFF FFFEFFFF
	s_and_b32 s61, 0xfffeffff, s61                             // 000000009E5C: 863D3DFF FFFEFFFF
	v_cndmask_b32_e64 v53, v53, v178, s[60:61]                 // 000000009E64: D1000035 00F36535
	s_lshl_b32 s60, s60, 1                                     // 000000009E6C: 8E3C813C
	s_lshl_b32 s61, s61, 1                                     // 000000009E70: 8E3D813D
	s_and_b32 s60, 0xfffeffff, s60                             // 000000009E74: 863C3CFF FFFEFFFF
	s_and_b32 s61, 0xfffeffff, s61                             // 000000009E7C: 863D3DFF FFFEFFFF
	v_cndmask_b32_e64 v54, v54, v178, s[60:61]                 // 000000009E84: D1000036 00F36536
	s_lshl_b32 s60, s60, 1                                     // 000000009E8C: 8E3C813C
	s_lshl_b32 s61, s61, 1                                     // 000000009E90: 8E3D813D
	s_and_b32 s60, 0xfffeffff, s60                             // 000000009E94: 863C3CFF FFFEFFFF
	s_and_b32 s61, 0xfffeffff, s61                             // 000000009E9C: 863D3DFF FFFEFFFF
	v_cndmask_b32_e64 v55, v55, v178, s[60:61]                 // 000000009EA4: D1000037 00F36537
	s_branch label_1867                                        // 000000009EAC: BF820020

0000000000009eb0 <label_1847>:
	v_mov_b32_e32 v52, v178                                    // 000000009EB0: 7E6803B2
	v_mov_b32_e32 v53, v178                                    // 000000009EB4: 7E6A03B2
	v_mov_b32_e32 v54, v178                                    // 000000009EB8: 7E6C03B2
	v_mov_b32_e32 v55, v178                                    // 000000009EBC: 7E6E03B2
	s_branch label_1867                                        // 000000009EC0: BF82001B

0000000000009ec4 <label_184C>:
	v_cndmask_b32_e64 v56, v56, v178, s[60:61]                 // 000000009EC4: D1000038 00F36538
	s_lshl_b32 s60, s60, 1                                     // 000000009ECC: 8E3C813C
	s_lshl_b32 s61, s61, 1                                     // 000000009ED0: 8E3D813D
	s_and_b32 s60, 0xfffeffff, s60                             // 000000009ED4: 863C3CFF FFFEFFFF
	s_and_b32 s61, 0xfffeffff, s61                             // 000000009EDC: 863D3DFF FFFEFFFF
	v_cndmask_b32_e64 v57, v57, v178, s[60:61]                 // 000000009EE4: D1000039 00F36539
	s_lshl_b32 s60, s60, 1                                     // 000000009EEC: 8E3C813C
	s_lshl_b32 s61, s61, 1                                     // 000000009EF0: 8E3D813D
	s_and_b32 s60, 0xfffeffff, s60                             // 000000009EF4: 863C3CFF FFFEFFFF
	s_and_b32 s61, 0xfffeffff, s61                             // 000000009EFC: 863D3DFF FFFEFFFF
	v_cndmask_b32_e64 v58, v58, v178, s[60:61]                 // 000000009F04: D100003A 00F3653A
	s_lshl_b32 s60, s60, 1                                     // 000000009F0C: 8E3C813C
	s_lshl_b32 s61, s61, 1                                     // 000000009F10: 8E3D813D
	s_and_b32 s60, 0xfffeffff, s60                             // 000000009F14: 863C3CFF FFFEFFFF
	s_and_b32 s61, 0xfffeffff, s61                             // 000000009F1C: 863D3DFF FFFEFFFF
	v_cndmask_b32_e64 v59, v59, v178, s[60:61]                 // 000000009F24: D100003B 00F3653B
	s_branch label_1887                                        // 000000009F2C: BF820020

0000000000009f30 <label_1867>:
	v_mov_b32_e32 v56, v178                                    // 000000009F30: 7E7003B2
	v_mov_b32_e32 v57, v178                                    // 000000009F34: 7E7203B2
	v_mov_b32_e32 v58, v178                                    // 000000009F38: 7E7403B2
	v_mov_b32_e32 v59, v178                                    // 000000009F3C: 7E7603B2
	s_branch label_1887                                        // 000000009F40: BF82001B

0000000000009f44 <label_186C>:
	v_cndmask_b32_e64 v60, v60, v178, s[60:61]                 // 000000009F44: D100003C 00F3653C
	s_lshl_b32 s60, s60, 1                                     // 000000009F4C: 8E3C813C
	s_lshl_b32 s61, s61, 1                                     // 000000009F50: 8E3D813D
	s_and_b32 s60, 0xfffeffff, s60                             // 000000009F54: 863C3CFF FFFEFFFF
	s_and_b32 s61, 0xfffeffff, s61                             // 000000009F5C: 863D3DFF FFFEFFFF
	v_cndmask_b32_e64 v61, v61, v178, s[60:61]                 // 000000009F64: D100003D 00F3653D
	s_lshl_b32 s60, s60, 1                                     // 000000009F6C: 8E3C813C
	s_lshl_b32 s61, s61, 1                                     // 000000009F70: 8E3D813D
	s_and_b32 s60, 0xfffeffff, s60                             // 000000009F74: 863C3CFF FFFEFFFF
	s_and_b32 s61, 0xfffeffff, s61                             // 000000009F7C: 863D3DFF FFFEFFFF
	v_cndmask_b32_e64 v62, v62, v178, s[60:61]                 // 000000009F84: D100003E 00F3653E
	s_lshl_b32 s60, s60, 1                                     // 000000009F8C: 8E3C813C
	s_lshl_b32 s61, s61, 1                                     // 000000009F90: 8E3D813D
	s_and_b32 s60, 0xfffeffff, s60                             // 000000009F94: 863C3CFF FFFEFFFF
	s_and_b32 s61, 0xfffeffff, s61                             // 000000009F9C: 863D3DFF FFFEFFFF
	v_cndmask_b32_e64 v63, v63, v178, s[60:61]                 // 000000009FA4: D100003F 00F3653F
	s_branch label_188C                                        // 000000009FAC: BF820005

0000000000009fb0 <label_1887>:
	v_mov_b32_e32 v60, v178                                    // 000000009FB0: 7E7803B2
	v_mov_b32_e32 v61, v178                                    // 000000009FB4: 7E7A03B2
	v_mov_b32_e32 v62, v178                                    // 000000009FB8: 7E7C03B2
	v_mov_b32_e32 v63, v178                                    // 000000009FBC: 7E7E03B2
	s_branch label_188C                                        // 000000009FC0: BF820000

0000000000009fc4 <label_188C>:
	s_addk_i32 s74, 0x1                                        // 000000009FC4: B74A0001
	s_add_u32 s62, 0, s46                                      // 000000009FC8: 803E2E80
	s_cmp_lt_i32 s74, s62                                      // 000000009FCC: BF043E4A
	s_cbranch_scc1 label_18B8                                  // 000000009FD0: BF850028
	s_cmp_eq_i32 s74, s62                                      // 000000009FD4: BF003E4A
	s_cbranch_scc1 label_189D                                  // 000000009FD8: BF85000B
	s_add_u32 s62, 4, s46                                      // 000000009FDC: 803E2E84
	s_cmp_lt_i32 s74, s62                                      // 000000009FE0: BF043E4A
	s_cbranch_scc1 label_18D8                                  // 000000009FE4: BF850043
	s_cmp_eq_i32 s74, s62                                      // 000000009FE8: BF003E4A
	s_cbranch_scc1 label_18BD                                  // 000000009FEC: BF850026
	s_add_u32 s62, 8, s46                                      // 000000009FF0: 803E2E88
	s_cmp_lt_i32 s74, s62                                      // 000000009FF4: BF043E4A
	s_cbranch_scc1 label_18F8                                  // 000000009FF8: BF85005E
	s_cmp_eq_i32 s74, s62                                      // 000000009FFC: BF003E4A
	s_cbranch_scc1 label_18DD                                  // 00000000A000: BF850041
	s_branch label_18FD                                        // 00000000A004: BF820060

000000000000a008 <label_189D>:
	v_cndmask_b32_e64 v64, v64, v178, s[60:61]                 // 00000000A008: D1000040 00F36540
	s_lshl_b32 s60, s60, 1                                     // 00000000A010: 8E3C813C
	s_lshl_b32 s61, s61, 1                                     // 00000000A014: 8E3D813D
	s_and_b32 s60, 0xfffeffff, s60                             // 00000000A018: 863C3CFF FFFEFFFF
	s_and_b32 s61, 0xfffeffff, s61                             // 00000000A020: 863D3DFF FFFEFFFF
	v_cndmask_b32_e64 v65, v65, v178, s[60:61]                 // 00000000A028: D1000041 00F36541
	s_lshl_b32 s60, s60, 1                                     // 00000000A030: 8E3C813C
	s_lshl_b32 s61, s61, 1                                     // 00000000A034: 8E3D813D
	s_and_b32 s60, 0xfffeffff, s60                             // 00000000A038: 863C3CFF FFFEFFFF
	s_and_b32 s61, 0xfffeffff, s61                             // 00000000A040: 863D3DFF FFFEFFFF
	v_cndmask_b32_e64 v66, v66, v178, s[60:61]                 // 00000000A048: D1000042 00F36542
	s_lshl_b32 s60, s60, 1                                     // 00000000A050: 8E3C813C
	s_lshl_b32 s61, s61, 1                                     // 00000000A054: 8E3D813D
	s_and_b32 s60, 0xfffeffff, s60                             // 00000000A058: 863C3CFF FFFEFFFF
	s_and_b32 s61, 0xfffeffff, s61                             // 00000000A060: 863D3DFF FFFEFFFF
	v_cndmask_b32_e64 v67, v67, v178, s[60:61]                 // 00000000A068: D1000043 00F36543
	s_branch label_18D8                                        // 00000000A070: BF820020

000000000000a074 <label_18B8>:
	v_mov_b32_e32 v64, v178                                    // 00000000A074: 7E8003B2
	v_mov_b32_e32 v65, v178                                    // 00000000A078: 7E8203B2
	v_mov_b32_e32 v66, v178                                    // 00000000A07C: 7E8403B2
	v_mov_b32_e32 v67, v178                                    // 00000000A080: 7E8603B2
	s_branch label_18D8                                        // 00000000A084: BF82001B

000000000000a088 <label_18BD>:
	v_cndmask_b32_e64 v68, v68, v178, s[60:61]                 // 00000000A088: D1000044 00F36544
	s_lshl_b32 s60, s60, 1                                     // 00000000A090: 8E3C813C
	s_lshl_b32 s61, s61, 1                                     // 00000000A094: 8E3D813D
	s_and_b32 s60, 0xfffeffff, s60                             // 00000000A098: 863C3CFF FFFEFFFF
	s_and_b32 s61, 0xfffeffff, s61                             // 00000000A0A0: 863D3DFF FFFEFFFF
	v_cndmask_b32_e64 v69, v69, v178, s[60:61]                 // 00000000A0A8: D1000045 00F36545
	s_lshl_b32 s60, s60, 1                                     // 00000000A0B0: 8E3C813C
	s_lshl_b32 s61, s61, 1                                     // 00000000A0B4: 8E3D813D
	s_and_b32 s60, 0xfffeffff, s60                             // 00000000A0B8: 863C3CFF FFFEFFFF
	s_and_b32 s61, 0xfffeffff, s61                             // 00000000A0C0: 863D3DFF FFFEFFFF
	v_cndmask_b32_e64 v70, v70, v178, s[60:61]                 // 00000000A0C8: D1000046 00F36546
	s_lshl_b32 s60, s60, 1                                     // 00000000A0D0: 8E3C813C
	s_lshl_b32 s61, s61, 1                                     // 00000000A0D4: 8E3D813D
	s_and_b32 s60, 0xfffeffff, s60                             // 00000000A0D8: 863C3CFF FFFEFFFF
	s_and_b32 s61, 0xfffeffff, s61                             // 00000000A0E0: 863D3DFF FFFEFFFF
	v_cndmask_b32_e64 v71, v71, v178, s[60:61]                 // 00000000A0E8: D1000047 00F36547
	s_branch label_18F8                                        // 00000000A0F0: BF820020

000000000000a0f4 <label_18D8>:
	v_mov_b32_e32 v68, v178                                    // 00000000A0F4: 7E8803B2
	v_mov_b32_e32 v69, v178                                    // 00000000A0F8: 7E8A03B2
	v_mov_b32_e32 v70, v178                                    // 00000000A0FC: 7E8C03B2
	v_mov_b32_e32 v71, v178                                    // 00000000A100: 7E8E03B2
	s_branch label_18F8                                        // 00000000A104: BF82001B

000000000000a108 <label_18DD>:
	v_cndmask_b32_e64 v72, v72, v178, s[60:61]                 // 00000000A108: D1000048 00F36548
	s_lshl_b32 s60, s60, 1                                     // 00000000A110: 8E3C813C
	s_lshl_b32 s61, s61, 1                                     // 00000000A114: 8E3D813D
	s_and_b32 s60, 0xfffeffff, s60                             // 00000000A118: 863C3CFF FFFEFFFF
	s_and_b32 s61, 0xfffeffff, s61                             // 00000000A120: 863D3DFF FFFEFFFF
	v_cndmask_b32_e64 v73, v73, v178, s[60:61]                 // 00000000A128: D1000049 00F36549
	s_lshl_b32 s60, s60, 1                                     // 00000000A130: 8E3C813C
	s_lshl_b32 s61, s61, 1                                     // 00000000A134: 8E3D813D
	s_and_b32 s60, 0xfffeffff, s60                             // 00000000A138: 863C3CFF FFFEFFFF
	s_and_b32 s61, 0xfffeffff, s61                             // 00000000A140: 863D3DFF FFFEFFFF
	v_cndmask_b32_e64 v74, v74, v178, s[60:61]                 // 00000000A148: D100004A 00F3654A
	s_lshl_b32 s60, s60, 1                                     // 00000000A150: 8E3C813C
	s_lshl_b32 s61, s61, 1                                     // 00000000A154: 8E3D813D
	s_and_b32 s60, 0xfffeffff, s60                             // 00000000A158: 863C3CFF FFFEFFFF
	s_and_b32 s61, 0xfffeffff, s61                             // 00000000A160: 863D3DFF FFFEFFFF
	v_cndmask_b32_e64 v75, v75, v178, s[60:61]                 // 00000000A168: D100004B 00F3654B
	s_branch label_18FD                                        // 00000000A170: BF820005

000000000000a174 <label_18F8>:
	v_mov_b32_e32 v72, v178                                    // 00000000A174: 7E9003B2
	v_mov_b32_e32 v73, v178                                    // 00000000A178: 7E9203B2
	v_mov_b32_e32 v74, v178                                    // 00000000A17C: 7E9403B2
	v_mov_b32_e32 v75, v178                                    // 00000000A180: 7E9603B2
	s_branch label_18FD                                        // 00000000A184: BF820000

000000000000a188 <label_18FD>:
	s_cmp_lt_i32 s101, 0xc0                                    // 00000000A188: BF04FF65 000000C0
	s_cbranch_scc0 label_1976                                  // 00000000A190: BF84006D
	s_cmp_le_i32 s101, 64                                      // 00000000A194: BF05C065
	s_cbranch_scc1 label_1909                                  // 00000000A198: BF850007
	s_cmp_le_i32 s101, 0x80                                    // 00000000A19C: BF05FF65 00000080
	s_cbranch_scc1 label_192D                                  // 00000000A1A4: BF85001F
	s_cmp_lt_i32 s101, 0xc0                                    // 00000000A1A8: BF04FF65 000000C0
	s_cbranch_scc1 label_1951                                  // 00000000A1B0: BF850040
	s_branch label_1976                                        // 00000000A1B4: BF820064

000000000000a1b8 <label_1909>:
	s_mov_b32 s60, 0                                           // 00000000A1B8: BEBC0080
	v_and_b32_e32 v32, 15, v0                                  // 00000000A1BC: 2640008F
	v_add_u32_e64 v32, v32, s60                                // 00000000A1C0: D1340020 00007920
	v_mul_i32_i24_e64 v33, s46, 16                             // 00000000A1C8: D1060021 0001202E
	v_add_u32_e32 v32, v32, v33                                // 00000000A1D0: 68404320
	v_cmp_lt_u32_e64 s[60:61], v32, s101                       // 00000000A1D4: D0C9003C 0000CB20
	s_nop 1                                                    // 00000000A1DC: BF800001
	v_cndmask_b32_e64 v52, v178, v52, s[60:61]                 // 00000000A1E0: D1000034 00F269B2
	v_cndmask_b32_e64 v64, v178, v64, s[60:61]                 // 00000000A1E8: D1000040 00F281B2
	v_cndmask_b32_e64 v53, v178, v53, s[60:61]                 // 00000000A1F0: D1000035 00F26BB2
	v_cndmask_b32_e64 v65, v178, v65, s[60:61]                 // 00000000A1F8: D1000041 00F283B2
	v_cndmask_b32_e64 v54, v178, v54, s[60:61]                 // 00000000A200: D1000036 00F26DB2
	v_cndmask_b32_e64 v66, v178, v66, s[60:61]                 // 00000000A208: D1000042 00F285B2
	v_cndmask_b32_e64 v55, v178, v55, s[60:61]                 // 00000000A210: D1000037 00F26FB2
	v_cndmask_b32_e64 v67, v178, v67, s[60:61]                 // 00000000A218: D1000043 00F287B2
	s_branch label_1948                                        // 00000000A220: BF82001B

000000000000a224 <label_192D>:
	s_mov_b32 s60, 64                                          // 00000000A224: BEBC00C0
	v_and_b32_e32 v32, 15, v0                                  // 00000000A228: 2640008F
	v_add_u32_e64 v32, v32, s60                                // 00000000A22C: D1340020 00007920
	v_mul_i32_i24_e64 v33, s46, 16                             // 00000000A234: D1060021 0001202E
	v_add_u32_e32 v32, v32, v33                                // 00000000A23C: 68404320
	v_cmp_lt_u32_e64 s[60:61], v32, s101                       // 00000000A240: D0C9003C 0000CB20
	s_nop 1                                                    // 00000000A248: BF800001
	v_cndmask_b32_e64 v56, v178, v56, s[60:61]                 // 00000000A24C: D1000038 00F271B2
	v_cndmask_b32_e64 v68, v178, v68, s[60:61]                 // 00000000A254: D1000044 00F289B2
	v_cndmask_b32_e64 v57, v178, v57, s[60:61]                 // 00000000A25C: D1000039 00F273B2
	v_cndmask_b32_e64 v69, v178, v69, s[60:61]                 // 00000000A264: D1000045 00F28BB2
	v_cndmask_b32_e64 v58, v178, v58, s[60:61]                 // 00000000A26C: D100003A 00F275B2
	v_cndmask_b32_e64 v70, v178, v70, s[60:61]                 // 00000000A274: D1000046 00F28DB2
	v_cndmask_b32_e64 v59, v178, v59, s[60:61]                 // 00000000A27C: D100003B 00F277B2
	v_cndmask_b32_e64 v71, v178, v71, s[60:61]                 // 00000000A284: D1000047 00F28FB2
	s_branch label_196D                                        // 00000000A28C: BF820025

000000000000a290 <label_1948>:
	v_mov_b32_e32 v56, v178                                    // 00000000A290: 7E7003B2
	v_mov_b32_e32 v68, v178                                    // 00000000A294: 7E8803B2
	v_mov_b32_e32 v57, v178                                    // 00000000A298: 7E7203B2
	v_mov_b32_e32 v69, v178                                    // 00000000A29C: 7E8A03B2
	v_mov_b32_e32 v58, v178                                    // 00000000A2A0: 7E7403B2
	v_mov_b32_e32 v70, v178                                    // 00000000A2A4: 7E8C03B2
	v_mov_b32_e32 v59, v178                                    // 00000000A2A8: 7E7603B2
	v_mov_b32_e32 v71, v178                                    // 00000000A2AC: 7E8E03B2
	s_branch label_196D                                        // 00000000A2B0: BF82001C

000000000000a2b4 <label_1951>:
	s_mov_b32 s60, 0x80                                        // 00000000A2B4: BEBC00FF 00000080
	v_and_b32_e32 v32, 15, v0                                  // 00000000A2BC: 2640008F
	v_add_u32_e64 v32, v32, s60                                // 00000000A2C0: D1340020 00007920
	v_mul_i32_i24_e64 v33, s46, 16                             // 00000000A2C8: D1060021 0001202E
	v_add_u32_e32 v32, v32, v33                                // 00000000A2D0: 68404320
	v_cmp_lt_u32_e64 s[60:61], v32, s101                       // 00000000A2D4: D0C9003C 0000CB20
	s_nop 1                                                    // 00000000A2DC: BF800001
	v_cndmask_b32_e64 v60, v178, v60, s[60:61]                 // 00000000A2E0: D100003C 00F279B2
	v_cndmask_b32_e64 v72, v178, v72, s[60:61]                 // 00000000A2E8: D1000048 00F291B2
	v_cndmask_b32_e64 v61, v178, v61, s[60:61]                 // 00000000A2F0: D100003D 00F27BB2
	v_cndmask_b32_e64 v73, v178, v73, s[60:61]                 // 00000000A2F8: D1000049 00F293B2
	v_cndmask_b32_e64 v62, v178, v62, s[60:61]                 // 00000000A300: D100003E 00F27DB2
	v_cndmask_b32_e64 v74, v178, v74, s[60:61]                 // 00000000A308: D100004A 00F295B2
	v_cndmask_b32_e64 v63, v178, v63, s[60:61]                 // 00000000A310: D100003F 00F27FB2
	v_cndmask_b32_e64 v75, v178, v75, s[60:61]                 // 00000000A318: D100004B 00F297B2
	s_branch label_1976                                        // 00000000A320: BF820009

000000000000a324 <label_196D>:
	v_mov_b32_e32 v60, v178                                    // 00000000A324: 7E7803B2
	v_mov_b32_e32 v72, v178                                    // 00000000A328: 7E9003B2
	v_mov_b32_e32 v61, v178                                    // 00000000A32C: 7E7A03B2
	v_mov_b32_e32 v73, v178                                    // 00000000A330: 7E9203B2
	v_mov_b32_e32 v62, v178                                    // 00000000A334: 7E7C03B2
	v_mov_b32_e32 v74, v178                                    // 00000000A338: 7E9403B2
	v_mov_b32_e32 v63, v178                                    // 00000000A33C: 7E7E03B2
	v_mov_b32_e32 v75, v178                                    // 00000000A340: 7E9603B2
	s_branch label_1976                                        // 00000000A344: BF820000

000000000000a348 <label_1976>:
	s_addk_i32 s74, 0x1                                        // 00000000A348: B74A0001
	s_waitcnt lgkmcnt(8)                                       // 00000000A34C: BF8CC87F
	s_barrier                                                  // 00000000A350: BF8A0000
	v_mfma_f32_16x16x16_bf16 v[76:79], v[108:109], a[72:73], 0 // 00000000A354: D3E1004C 1202916C
	v_fma_f32 v52, v52, s57, -v140                             // 00000000A35C: D1CB0034 86307334
	v_fma_f32 v53, v53, s57, -v141                             // 00000000A364: D1CB0035 86347335
	v_fma_f32 v54, v54, s57, -v142                             // 00000000A36C: D1CB0036 86387336
	v_fma_f32 v55, v55, s57, -v143                             // 00000000A374: D1CB0037 863C7337
	v_fma_f32 v56, v56, s57, -v140                             // 00000000A37C: D1CB0038 86307338
	v_fma_f32 v57, v57, s57, -v141                             // 00000000A384: D1CB0039 86347339
	v_mfma_f32_16x16x16_bf16 v[76:79], v[110:111], a[74:75], v[76:79]// 00000000A38C: D3E1004C 1532956E
	ds_read_b128 a[96:99], v14 offset:4352                     // 00000000A394: DBFE1100 6000000E
	ds_read_b128 a[100:103], v14 offset:4864                   // 00000000A39C: DBFE1300 6400000E
	v_mfma_f32_16x16x16_bf16 v[76:79], v[112:113], a[76:77], v[76:79]// 00000000A3A4: D3E1004C 15329970
	v_fma_f32 v58, v58, s57, -v142                             // 00000000A3AC: D1CB003A 8638733A
	v_fma_f32 v59, v59, s57, -v143                             // 00000000A3B4: D1CB003B 863C733B
	v_fma_f32 v60, v60, s57, -v140                             // 00000000A3BC: D1CB003C 8630733C
	v_fma_f32 v61, v61, s57, -v141                             // 00000000A3C4: D1CB003D 8634733D
	v_fma_f32 v62, v62, s57, -v142                             // 00000000A3CC: D1CB003E 8638733E
	v_fma_f32 v63, v63, s57, -v143                             // 00000000A3D4: D1CB003F 863C733F
	v_mfma_f32_16x16x16_bf16 v[76:79], v[114:115], a[78:79], v[76:79]// 00000000A3DC: D3E1004C 15329D72
	v_fma_f32 v64, v64, s57, -v144                             // 00000000A3E4: D1CB0040 86407340
	v_fma_f32 v65, v65, s57, -v145                             // 00000000A3EC: D1CB0041 86447341
	v_fma_f32 v66, v66, s57, -v146                             // 00000000A3F4: D1CB0042 86487342
	v_fma_f32 v67, v67, s57, -v147                             // 00000000A3FC: D1CB0043 864C7343
	v_fma_f32 v68, v68, s57, -v144                             // 00000000A404: D1CB0044 86407344
	v_fma_f32 v69, v69, s57, -v145                             // 00000000A40C: D1CB0045 86447345
	v_mfma_f32_16x16x16_bf16 v[80:83], v[108:109], a[80:81], 0 // 00000000A414: D3E10050 1202A16C
	v_fma_f32 v70, v70, s57, -v146                             // 00000000A41C: D1CB0046 86487346
	v_fma_f32 v71, v71, s57, -v147                             // 00000000A424: D1CB0047 864C7347
	v_fma_f32 v72, v72, s57, -v144                             // 00000000A42C: D1CB0048 86407348
	v_fma_f32 v73, v73, s57, -v145                             // 00000000A434: D1CB0049 86447349
	v_fma_f32 v74, v74, s57, -v146                             // 00000000A43C: D1CB004A 8648734A
	v_fma_f32 v75, v75, s57, -v147                             // 00000000A444: D1CB004B 864C734B
	v_mfma_f32_16x16x16_bf16 v[80:83], v[110:111], a[82:83], v[80:83]// 00000000A44C: D3E10050 1542A56E
	ds_read_b128 a[104:107], v14 offset:6528                   // 00000000A454: DBFE1980 6800000E
	ds_read_b128 a[108:111], v14 offset:7040                   // 00000000A45C: DBFE1B80 6C00000E
	v_mfma_f32_16x16x16_bf16 v[80:83], v[112:113], a[84:85], v[80:83]// 00000000A464: D3E10050 1542A970
	v_exp_f32_e32 v52, v52                                     // 00000000A46C: 7E684134
	v_exp_f32_e32 v53, v53                                     // 00000000A470: 7E6A4135
	v_mfma_f32_16x16x16_bf16 v[80:83], v[114:115], a[86:87], v[80:83]// 00000000A474: D3E10050 1542AD72
	v_exp_f32_e32 v54, v54                                     // 00000000A47C: 7E6C4136
	v_exp_f32_e32 v55, v55                                     // 00000000A480: 7E6E4137
	v_mfma_f32_16x16x16_bf16 v[84:87], v[108:109], a[88:89], 0 // 00000000A484: D3E10054 1202B16C
	v_exp_f32_e32 v56, v56                                     // 00000000A48C: 7E704138
	v_exp_f32_e32 v57, v57                                     // 00000000A490: 7E724139
	v_mfma_f32_16x16x16_bf16 v[84:87], v[110:111], a[90:91], v[84:87]// 00000000A494: D3E10054 1552B56E
	ds_read_b64 v[156:157], v21 offset:31232                   // 00000000A49C: D8EC7A00 9C000015
	ds_read_b64 v[158:159], v21 offset:33280                   // 00000000A4A4: D8EC8200 9E000015
	v_mfma_f32_16x16x16_bf16 v[84:87], v[112:113], a[92:93], v[84:87]// 00000000A4AC: D3E10054 1552B970
	v_exp_f32_e32 v58, v58                                     // 00000000A4B4: 7E74413A
	v_exp_f32_e32 v59, v59                                     // 00000000A4B8: 7E76413B
	v_mfma_f32_16x16x16_bf16 v[84:87], v[114:115], a[94:95], v[84:87]// 00000000A4BC: D3E10054 1552BD72
	ds_read_b64 v[160:161], v21 offset:35328                   // 00000000A4C4: D8EC8A00 A0000015
	ds_read_b64 v[162:163], v21 offset:37376                   // 00000000A4CC: D8EC9200 A2000015
	v_mfma_f32_16x16x16_bf16 v[88:91], v[116:117], a[72:73], 0 // 00000000A4D4: D3E10058 12029174
	v_exp_f32_e32 v60, v60                                     // 00000000A4DC: 7E78413C
	v_exp_f32_e32 v61, v61                                     // 00000000A4E0: 7E7A413D
	v_mfma_f32_16x16x16_bf16 v[88:91], v[118:119], a[74:75], v[88:91]// 00000000A4E4: D3E10058 15629576
	v_exp_f32_e32 v62, v62                                     // 00000000A4EC: 7E7C413E
	v_exp_f32_e32 v63, v63                                     // 00000000A4F0: 7E7E413F
	v_mfma_f32_16x16x16_bf16 v[88:91], v[120:121], a[76:77], v[88:91]// 00000000A4F4: D3E10058 15629978
	v_exp_f32_e32 v64, v64                                     // 00000000A4FC: 7E804140
	v_exp_f32_e32 v65, v65                                     // 00000000A500: 7E824141
	v_mfma_f32_16x16x16_bf16 v[88:91], v[122:123], a[78:79], v[88:91]// 00000000A504: D3E10058 15629D7A
	v_exp_f32_e32 v66, v66                                     // 00000000A50C: 7E844142
	v_exp_f32_e32 v67, v67                                     // 00000000A510: 7E864143
	v_mfma_f32_16x16x16_bf16 v[92:95], v[116:117], a[80:81], 0 // 00000000A514: D3E1005C 1202A174
	v_exp_f32_e32 v68, v68                                     // 00000000A51C: 7E884144
	v_exp_f32_e32 v69, v69                                     // 00000000A520: 7E8A4145
	v_mfma_f32_16x16x16_bf16 v[92:95], v[118:119], a[82:83], v[92:95]// 00000000A524: D3E1005C 1572A576
	v_exp_f32_e32 v70, v70                                     // 00000000A52C: 7E8C4146
	v_exp_f32_e32 v71, v71                                     // 00000000A530: 7E8E4147
	v_mfma_f32_16x16x16_bf16 v[92:95], v[120:121], a[84:85], v[92:95]// 00000000A534: D3E1005C 1572A978
	v_exp_f32_e32 v72, v72                                     // 00000000A53C: 7E904148
	v_exp_f32_e32 v73, v73                                     // 00000000A540: 7E924149
	v_mfma_f32_16x16x16_bf16 v[92:95], v[122:123], a[86:87], v[92:95]// 00000000A544: D3E1005C 1572AD7A
	v_exp_f32_e32 v74, v74                                     // 00000000A54C: 7E94414A
	v_exp_f32_e32 v75, v75                                     // 00000000A550: 7E96414B
	v_mfma_f32_16x16x16_bf16 v[96:99], v[116:117], a[88:89], 0 // 00000000A554: D3E10060 1202B174
	v_cmp_u_f32_e64 s[78:79], v52, v52                         // 00000000A55C: D048004E 00026934
	v_bfe_u32 v228, v52, 16, 1                                 // 00000000A564: D1C800E4 02052134
	v_add3_u32 v228, v52, v228, v231                           // 00000000A56C: D1FF00E4 079FC934
	v_cndmask_b32_e64 v32, v228, v230, s[78:79]                // 00000000A574: D1000020 013BCDE4
	v_lshrrev_b32_e32 v32, 16, v32                             // 00000000A57C: 20404090
	v_cmp_u_f32_e64 s[78:79], v53, v53                         // 00000000A580: D048004E 00026B35
	v_bfe_u32 v228, v53, 16, 1                                 // 00000000A588: D1C800E4 02052135
	v_add3_u32 v228, v53, v228, v231                           // 00000000A590: D1FF00E4 079FC935
	v_cndmask_b32_e64 v33, v228, v230, s[78:79]                // 00000000A598: D1000021 013BCDE4
	v_and_or_b32 v164, v33, v229, v32                          // 00000000A5A0: D20100A4 0483CB21
	v_cmp_u_f32_e64 s[78:79], v54, v54                         // 00000000A5A8: D048004E 00026D36
	v_bfe_u32 v228, v54, 16, 1                                 // 00000000A5B0: D1C800E4 02052136
	v_add3_u32 v228, v54, v228, v231                           // 00000000A5B8: D1FF00E4 079FC936
	v_cndmask_b32_e64 v32, v228, v230, s[78:79]                // 00000000A5C0: D1000020 013BCDE4
	v_lshrrev_b32_e32 v32, 16, v32                             // 00000000A5C8: 20404090
	v_cmp_u_f32_e64 s[78:79], v55, v55                         // 00000000A5CC: D048004E 00026F37
	v_bfe_u32 v228, v55, 16, 1                                 // 00000000A5D4: D1C800E4 02052137
	v_add3_u32 v228, v55, v228, v231                           // 00000000A5DC: D1FF00E4 079FC937
	v_cndmask_b32_e64 v33, v228, v230, s[78:79]                // 00000000A5E4: D1000021 013BCDE4
	v_and_or_b32 v165, v33, v229, v32                          // 00000000A5EC: D20100A5 0483CB21
	v_cmp_u_f32_e64 s[78:79], v56, v56                         // 00000000A5F4: D048004E 00027138
	v_bfe_u32 v228, v56, 16, 1                                 // 00000000A5FC: D1C800E4 02052138
	v_add3_u32 v228, v56, v228, v231                           // 00000000A604: D1FF00E4 079FC938
	v_cndmask_b32_e64 v32, v228, v230, s[78:79]                // 00000000A60C: D1000020 013BCDE4
	v_lshrrev_b32_e32 v32, 16, v32                             // 00000000A614: 20404090
	v_cmp_u_f32_e64 s[78:79], v57, v57                         // 00000000A618: D048004E 00027339
	v_bfe_u32 v228, v57, 16, 1                                 // 00000000A620: D1C800E4 02052139
	v_add3_u32 v228, v57, v228, v231                           // 00000000A628: D1FF00E4 079FC939
	v_cndmask_b32_e64 v33, v228, v230, s[78:79]                // 00000000A630: D1000021 013BCDE4
	v_and_or_b32 v166, v33, v229, v32                          // 00000000A638: D20100A6 0483CB21
	v_cmp_u_f32_e64 s[78:79], v58, v58                         // 00000000A640: D048004E 0002753A
	v_bfe_u32 v228, v58, 16, 1                                 // 00000000A648: D1C800E4 0205213A
	v_add3_u32 v228, v58, v228, v231                           // 00000000A650: D1FF00E4 079FC93A
	v_cndmask_b32_e64 v32, v228, v230, s[78:79]                // 00000000A658: D1000020 013BCDE4
	v_lshrrev_b32_e32 v32, 16, v32                             // 00000000A660: 20404090
	v_cmp_u_f32_e64 s[78:79], v59, v59                         // 00000000A664: D048004E 0002773B
	v_bfe_u32 v228, v59, 16, 1                                 // 00000000A66C: D1C800E4 0205213B
	v_add3_u32 v228, v59, v228, v231                           // 00000000A674: D1FF00E4 079FC93B
	v_cndmask_b32_e64 v33, v228, v230, s[78:79]                // 00000000A67C: D1000021 013BCDE4
	v_and_or_b32 v167, v33, v229, v32                          // 00000000A684: D20100A7 0483CB21
	v_cmp_u_f32_e64 s[78:79], v60, v60                         // 00000000A68C: D048004E 0002793C
	v_bfe_u32 v228, v60, 16, 1                                 // 00000000A694: D1C800E4 0205213C
	v_add3_u32 v228, v60, v228, v231                           // 00000000A69C: D1FF00E4 079FC93C
	v_cndmask_b32_e64 v32, v228, v230, s[78:79]                // 00000000A6A4: D1000020 013BCDE4
	v_lshrrev_b32_e32 v32, 16, v32                             // 00000000A6AC: 20404090
	v_cmp_u_f32_e64 s[78:79], v61, v61                         // 00000000A6B0: D048004E 00027B3D
	v_bfe_u32 v228, v61, 16, 1                                 // 00000000A6B8: D1C800E4 0205213D
	v_add3_u32 v228, v61, v228, v231                           // 00000000A6C0: D1FF00E4 079FC93D
	v_cndmask_b32_e64 v33, v228, v230, s[78:79]                // 00000000A6C8: D1000021 013BCDE4
	v_and_or_b32 v168, v33, v229, v32                          // 00000000A6D0: D20100A8 0483CB21
	v_cmp_u_f32_e64 s[78:79], v62, v62                         // 00000000A6D8: D048004E 00027D3E
	v_bfe_u32 v228, v62, 16, 1                                 // 00000000A6E0: D1C800E4 0205213E
	v_add3_u32 v228, v62, v228, v231                           // 00000000A6E8: D1FF00E4 079FC93E
	v_cndmask_b32_e64 v32, v228, v230, s[78:79]                // 00000000A6F0: D1000020 013BCDE4
	v_lshrrev_b32_e32 v32, 16, v32                             // 00000000A6F8: 20404090
	v_cmp_u_f32_e64 s[78:79], v63, v63                         // 00000000A6FC: D048004E 00027F3F
	v_bfe_u32 v228, v63, 16, 1                                 // 00000000A704: D1C800E4 0205213F
	v_add3_u32 v228, v63, v228, v231                           // 00000000A70C: D1FF00E4 079FC93F
	v_cndmask_b32_e64 v33, v228, v230, s[78:79]                // 00000000A714: D1000021 013BCDE4
	v_and_or_b32 v169, v33, v229, v32                          // 00000000A71C: D20100A9 0483CB21
	v_mfma_f32_16x16x16_bf16 v[96:99], v[118:119], a[90:91], v[96:99]// 00000000A724: D3E10060 1582B576
	v_cmp_u_f32_e64 s[78:79], v64, v64                         // 00000000A72C: D048004E 00028140
	v_bfe_u32 v228, v64, 16, 1                                 // 00000000A734: D1C800E4 02052140
	v_add3_u32 v228, v64, v228, v231                           // 00000000A73C: D1FF00E4 079FC940
	v_cndmask_b32_e64 v32, v228, v230, s[78:79]                // 00000000A744: D1000020 013BCDE4
	v_lshrrev_b32_e32 v32, 16, v32                             // 00000000A74C: 20404090
	v_cmp_u_f32_e64 s[78:79], v65, v65                         // 00000000A750: D048004E 00028341
	v_bfe_u32 v228, v65, 16, 1                                 // 00000000A758: D1C800E4 02052141
	v_add3_u32 v228, v65, v228, v231                           // 00000000A760: D1FF00E4 079FC941
	v_cndmask_b32_e64 v33, v228, v230, s[78:79]                // 00000000A768: D1000021 013BCDE4
	v_and_or_b32 v170, v33, v229, v32                          // 00000000A770: D20100AA 0483CB21
	v_cmp_u_f32_e64 s[78:79], v66, v66                         // 00000000A778: D048004E 00028542
	v_bfe_u32 v228, v66, 16, 1                                 // 00000000A780: D1C800E4 02052142
	v_add3_u32 v228, v66, v228, v231                           // 00000000A788: D1FF00E4 079FC942
	v_cndmask_b32_e64 v32, v228, v230, s[78:79]                // 00000000A790: D1000020 013BCDE4
	v_lshrrev_b32_e32 v32, 16, v32                             // 00000000A798: 20404090
	v_cmp_u_f32_e64 s[78:79], v67, v67                         // 00000000A79C: D048004E 00028743
	v_bfe_u32 v228, v67, 16, 1                                 // 00000000A7A4: D1C800E4 02052143
	v_add3_u32 v228, v67, v228, v231                           // 00000000A7AC: D1FF00E4 079FC943
	v_cndmask_b32_e64 v33, v228, v230, s[78:79]                // 00000000A7B4: D1000021 013BCDE4
	v_and_or_b32 v171, v33, v229, v32                          // 00000000A7BC: D20100AB 0483CB21
	v_cmp_u_f32_e64 s[78:79], v68, v68                         // 00000000A7C4: D048004E 00028944
	v_bfe_u32 v228, v68, 16, 1                                 // 00000000A7CC: D1C800E4 02052144
	v_add3_u32 v228, v68, v228, v231                           // 00000000A7D4: D1FF00E4 079FC944
	v_cndmask_b32_e64 v32, v228, v230, s[78:79]                // 00000000A7DC: D1000020 013BCDE4
	v_lshrrev_b32_e32 v32, 16, v32                             // 00000000A7E4: 20404090
	v_cmp_u_f32_e64 s[78:79], v69, v69                         // 00000000A7E8: D048004E 00028B45
	v_bfe_u32 v228, v69, 16, 1                                 // 00000000A7F0: D1C800E4 02052145
	v_add3_u32 v228, v69, v228, v231                           // 00000000A7F8: D1FF00E4 079FC945
	v_cndmask_b32_e64 v33, v228, v230, s[78:79]                // 00000000A800: D1000021 013BCDE4
	v_and_or_b32 v172, v33, v229, v32                          // 00000000A808: D20100AC 0483CB21
	v_cmp_u_f32_e64 s[78:79], v70, v70                         // 00000000A810: D048004E 00028D46
	v_bfe_u32 v228, v70, 16, 1                                 // 00000000A818: D1C800E4 02052146
	v_add3_u32 v228, v70, v228, v231                           // 00000000A820: D1FF00E4 079FC946
	v_cndmask_b32_e64 v32, v228, v230, s[78:79]                // 00000000A828: D1000020 013BCDE4
	v_lshrrev_b32_e32 v32, 16, v32                             // 00000000A830: 20404090
	v_cmp_u_f32_e64 s[78:79], v71, v71                         // 00000000A834: D048004E 00028F47
	v_bfe_u32 v228, v71, 16, 1                                 // 00000000A83C: D1C800E4 02052147
	v_add3_u32 v228, v71, v228, v231                           // 00000000A844: D1FF00E4 079FC947
	v_cndmask_b32_e64 v33, v228, v230, s[78:79]                // 00000000A84C: D1000021 013BCDE4
	v_and_or_b32 v173, v33, v229, v32                          // 00000000A854: D20100AD 0483CB21
	v_cmp_u_f32_e64 s[78:79], v72, v72                         // 00000000A85C: D048004E 00029148
	v_bfe_u32 v228, v72, 16, 1                                 // 00000000A864: D1C800E4 02052148
	v_add3_u32 v228, v72, v228, v231                           // 00000000A86C: D1FF00E4 079FC948
	v_cndmask_b32_e64 v32, v228, v230, s[78:79]                // 00000000A874: D1000020 013BCDE4
	v_lshrrev_b32_e32 v32, 16, v32                             // 00000000A87C: 20404090
	v_cmp_u_f32_e64 s[78:79], v73, v73                         // 00000000A880: D048004E 00029349
	v_bfe_u32 v228, v73, 16, 1                                 // 00000000A888: D1C800E4 02052149
	v_add3_u32 v228, v73, v228, v231                           // 00000000A890: D1FF00E4 079FC949
	v_cndmask_b32_e64 v33, v228, v230, s[78:79]                // 00000000A898: D1000021 013BCDE4
	v_and_or_b32 v174, v33, v229, v32                          // 00000000A8A0: D20100AE 0483CB21
	v_cmp_u_f32_e64 s[78:79], v74, v74                         // 00000000A8A8: D048004E 0002954A
	v_bfe_u32 v228, v74, 16, 1                                 // 00000000A8B0: D1C800E4 0205214A
	v_add3_u32 v228, v74, v228, v231                           // 00000000A8B8: D1FF00E4 079FC94A
	v_cndmask_b32_e64 v32, v228, v230, s[78:79]                // 00000000A8C0: D1000020 013BCDE4
	v_lshrrev_b32_e32 v32, 16, v32                             // 00000000A8C8: 20404090
	v_cmp_u_f32_e64 s[78:79], v75, v75                         // 00000000A8CC: D048004E 0002974B
	v_bfe_u32 v228, v75, 16, 1                                 // 00000000A8D4: D1C800E4 0205214B
	v_add3_u32 v228, v75, v228, v231                           // 00000000A8DC: D1FF00E4 079FC94B
	v_cndmask_b32_e64 v33, v228, v230, s[78:79]                // 00000000A8E4: D1000021 013BCDE4
	v_and_or_b32 v175, v33, v229, v32                          // 00000000A8EC: D20100AF 0483CB21
	v_mfma_f32_16x16x16_bf16 v[96:99], v[120:121], a[92:93], v[96:99]// 00000000A8F4: D3E10060 1582B978
	v_add_u32_e32 v6, s66, v6                                  // 00000000A8FC: 680C0C42
	v_add_u32_e32 v7, s66, v7                                  // 00000000A900: 680E0E42
	v_add_u32_e32 v8, s66, v8                                  // 00000000A904: 68101042
	v_add_u32_e32 v9, s66, v9                                  // 00000000A908: 68121242
	v_mfma_f32_16x16x16_bf16 v[96:99], v[122:123], a[94:95], v[96:99]// 00000000A90C: D3E10060 1582BD7A
	s_waitcnt lgkmcnt(0)                                       // 00000000A914: BF8CC07F
	s_barrier                                                  // 00000000A918: BF8A0000
	v_mfma_f32_16x16x16_bf16 v[180:183], v[124:125], v[164:165], v[180:183]// 00000000A91C: D3E100B4 06D3497C
	v_subrev_f32_dpp v76, v176, v76 quad_perm:[0,0,0,0] row_mask:0xf bank_mask:0xf// 00000000A924: 069898FA FF0000B0
	v_subrev_f32_dpp v77, v176, v77 quad_perm:[1,1,1,1] row_mask:0xf bank_mask:0xf// 00000000A92C: 069A9AFA FF0055B0
	v_subrev_f32_dpp v78, v176, v78 quad_perm:[2,2,2,2] row_mask:0xf bank_mask:0xf// 00000000A934: 069C9CFA FF00AAB0
	v_subrev_f32_dpp v79, v176, v79 quad_perm:[3,3,3,3] row_mask:0xf bank_mask:0xf// 00000000A93C: 069E9EFA FF00FFB0
	v_subrev_f32_dpp v80, v176, v80 quad_perm:[0,0,0,0] row_mask:0xf bank_mask:0xf// 00000000A944: 06A0A0FA FF0000B0
	v_subrev_f32_dpp v81, v176, v81 quad_perm:[1,1,1,1] row_mask:0xf bank_mask:0xf// 00000000A94C: 06A2A2FA FF0055B0
	v_mfma_f32_16x16x16_bf16 v[184:187], v[126:127], v[164:165], v[184:187]// 00000000A954: D3E100B8 06E3497E
	v_subrev_f32_dpp v82, v176, v82 quad_perm:[2,2,2,2] row_mask:0xf bank_mask:0xf// 00000000A95C: 06A4A4FA FF00AAB0
	v_subrev_f32_dpp v83, v176, v83 quad_perm:[3,3,3,3] row_mask:0xf bank_mask:0xf// 00000000A964: 06A6A6FA FF00FFB0
	v_subrev_f32_dpp v84, v176, v84 quad_perm:[0,0,0,0] row_mask:0xf bank_mask:0xf// 00000000A96C: 06A8A8FA FF0000B0
	v_subrev_f32_dpp v85, v176, v85 quad_perm:[1,1,1,1] row_mask:0xf bank_mask:0xf// 00000000A974: 06AAAAFA FF0055B0
	v_subrev_f32_dpp v86, v176, v86 quad_perm:[2,2,2,2] row_mask:0xf bank_mask:0xf// 00000000A97C: 06ACACFA FF00AAB0
	v_subrev_f32_dpp v87, v176, v87 quad_perm:[3,3,3,3] row_mask:0xf bank_mask:0xf// 00000000A984: 06AEAEFA FF00FFB0
	v_mfma_f32_16x16x16_bf16 v[188:191], v[128:129], v[164:165], v[188:191]// 00000000A98C: D3E100BC 06F34980
	v_mul_f32_e32 v76, v52, v76                                // 00000000A994: 0A989934
	v_mul_f32_e32 v77, v53, v77                                // 00000000A998: 0A9A9B35
	v_mul_f32_e32 v78, v54, v78                                // 00000000A99C: 0A9C9D36
	v_mul_f32_e32 v79, v55, v79                                // 00000000A9A0: 0A9E9F37
	v_mul_f32_e32 v80, v56, v80                                // 00000000A9A4: 0AA0A138
	v_mul_f32_e32 v81, v57, v81                                // 00000000A9A8: 0AA2A339
	v_mfma_f32_16x16x16_bf16 v[192:195], v[130:131], v[164:165], v[192:195]// 00000000A9AC: D3E100C0 07034982
	v_mul_f32_e32 v82, v58, v82                                // 00000000A9B4: 0AA4A53A
	v_mul_f32_e32 v83, v59, v83                                // 00000000A9B8: 0AA6A73B
	v_mul_f32_e32 v84, v60, v84                                // 00000000A9BC: 0AA8A93C
	v_mul_f32_e32 v85, v61, v85                                // 00000000A9C0: 0AAAAB3D
	v_mul_f32_e32 v86, v62, v86                                // 00000000A9C4: 0AACAD3E
	v_mul_f32_e32 v87, v63, v87                                // 00000000A9C8: 0AAEAF3F
	v_mfma_f32_16x16x16_bf16 v[196:199], v[124:125], v[166:167], v[196:199]// 00000000A9CC: D3E100C4 07134D7C
	v_cmp_u_f32_e64 s[78:79], v76, v76                         // 00000000A9D4: D048004E 0002994C
	v_bfe_u32 v228, v76, 16, 1                                 // 00000000A9DC: D1C800E4 0205214C
	v_add3_u32 v228, v76, v228, v231                           // 00000000A9E4: D1FF00E4 079FC94C
	v_cndmask_b32_e64 v32, v228, v230, s[78:79]                // 00000000A9EC: D1000020 013BCDE4
	v_lshrrev_b32_e32 v32, 16, v32                             // 00000000A9F4: 20404090
	v_cmp_u_f32_e64 s[78:79], v77, v77                         // 00000000A9F8: D048004E 00029B4D
	v_bfe_u32 v228, v77, 16, 1                                 // 00000000AA00: D1C800E4 0205214D
	v_add3_u32 v228, v77, v228, v231                           // 00000000AA08: D1FF00E4 079FC94D
	v_cndmask_b32_e64 v33, v228, v230, s[78:79]                // 00000000AA10: D1000021 013BCDE4
	v_and_or_b32 v76, v33, v229, v32                           // 00000000AA18: D201004C 0483CB21
	v_cmp_u_f32_e64 s[78:79], v78, v78                         // 00000000AA20: D048004E 00029D4E
	v_bfe_u32 v228, v78, 16, 1                                 // 00000000AA28: D1C800E4 0205214E
	v_add3_u32 v228, v78, v228, v231                           // 00000000AA30: D1FF00E4 079FC94E
	v_cndmask_b32_e64 v32, v228, v230, s[78:79]                // 00000000AA38: D1000020 013BCDE4
	v_lshrrev_b32_e32 v32, 16, v32                             // 00000000AA40: 20404090
	v_cmp_u_f32_e64 s[78:79], v79, v79                         // 00000000AA44: D048004E 00029F4F
	v_bfe_u32 v228, v79, 16, 1                                 // 00000000AA4C: D1C800E4 0205214F
	v_add3_u32 v228, v79, v228, v231                           // 00000000AA54: D1FF00E4 079FC94F
	v_cndmask_b32_e64 v33, v228, v230, s[78:79]                // 00000000AA5C: D1000021 013BCDE4
	v_and_or_b32 v77, v33, v229, v32                           // 00000000AA64: D201004D 0483CB21
	v_cmp_u_f32_e64 s[78:79], v80, v80                         // 00000000AA6C: D048004E 0002A150
	v_bfe_u32 v228, v80, 16, 1                                 // 00000000AA74: D1C800E4 02052150
	v_add3_u32 v228, v80, v228, v231                           // 00000000AA7C: D1FF00E4 079FC950
	v_cndmask_b32_e64 v32, v228, v230, s[78:79]                // 00000000AA84: D1000020 013BCDE4
	v_lshrrev_b32_e32 v32, 16, v32                             // 00000000AA8C: 20404090
	v_cmp_u_f32_e64 s[78:79], v81, v81                         // 00000000AA90: D048004E 0002A351
	v_bfe_u32 v228, v81, 16, 1                                 // 00000000AA98: D1C800E4 02052151
	v_add3_u32 v228, v81, v228, v231                           // 00000000AAA0: D1FF00E4 079FC951
	v_cndmask_b32_e64 v33, v228, v230, s[78:79]                // 00000000AAA8: D1000021 013BCDE4
	v_and_or_b32 v78, v33, v229, v32                           // 00000000AAB0: D201004E 0483CB21
	v_cmp_u_f32_e64 s[78:79], v82, v82                         // 00000000AAB8: D048004E 0002A552
	v_bfe_u32 v228, v82, 16, 1                                 // 00000000AAC0: D1C800E4 02052152
	v_add3_u32 v228, v82, v228, v231                           // 00000000AAC8: D1FF00E4 079FC952
	v_cndmask_b32_e64 v32, v228, v230, s[78:79]                // 00000000AAD0: D1000020 013BCDE4
	v_lshrrev_b32_e32 v32, 16, v32                             // 00000000AAD8: 20404090
	v_cmp_u_f32_e64 s[78:79], v83, v83                         // 00000000AADC: D048004E 0002A753
	v_bfe_u32 v228, v83, 16, 1                                 // 00000000AAE4: D1C800E4 02052153
	v_add3_u32 v228, v83, v228, v231                           // 00000000AAEC: D1FF00E4 079FC953
	v_cndmask_b32_e64 v33, v228, v230, s[78:79]                // 00000000AAF4: D1000021 013BCDE4
	v_and_or_b32 v79, v33, v229, v32                           // 00000000AAFC: D201004F 0483CB21
	v_cmp_u_f32_e64 s[78:79], v84, v84                         // 00000000AB04: D048004E 0002A954
	v_bfe_u32 v228, v84, 16, 1                                 // 00000000AB0C: D1C800E4 02052154
	v_add3_u32 v228, v84, v228, v231                           // 00000000AB14: D1FF00E4 079FC954
	v_cndmask_b32_e64 v32, v228, v230, s[78:79]                // 00000000AB1C: D1000020 013BCDE4
	v_lshrrev_b32_e32 v32, 16, v32                             // 00000000AB24: 20404090
	v_cmp_u_f32_e64 s[78:79], v85, v85                         // 00000000AB28: D048004E 0002AB55
	v_bfe_u32 v228, v85, 16, 1                                 // 00000000AB30: D1C800E4 02052155
	v_add3_u32 v228, v85, v228, v231                           // 00000000AB38: D1FF00E4 079FC955
	v_cndmask_b32_e64 v33, v228, v230, s[78:79]                // 00000000AB40: D1000021 013BCDE4
	v_and_or_b32 v80, v33, v229, v32                           // 00000000AB48: D2010050 0483CB21
	v_cmp_u_f32_e64 s[78:79], v86, v86                         // 00000000AB50: D048004E 0002AD56
	v_bfe_u32 v228, v86, 16, 1                                 // 00000000AB58: D1C800E4 02052156
	v_add3_u32 v228, v86, v228, v231                           // 00000000AB60: D1FF00E4 079FC956
	v_cndmask_b32_e64 v32, v228, v230, s[78:79]                // 00000000AB68: D1000020 013BCDE4
	v_lshrrev_b32_e32 v32, 16, v32                             // 00000000AB70: 20404090
	v_cmp_u_f32_e64 s[78:79], v87, v87                         // 00000000AB74: D048004E 0002AF57
	v_bfe_u32 v228, v87, 16, 1                                 // 00000000AB7C: D1C800E4 02052157
	v_add3_u32 v228, v87, v228, v231                           // 00000000AB84: D1FF00E4 079FC957
	v_cndmask_b32_e64 v33, v228, v230, s[78:79]                // 00000000AB8C: D1000021 013BCDE4
	v_and_or_b32 v81, v33, v229, v32                           // 00000000AB94: D2010051 0483CB21
	v_mfma_f32_16x16x16_bf16 v[200:203], v[126:127], v[166:167], v[200:203]// 00000000AB9C: D3E100C8 07234D7E
	v_mov_b32_dpp v18, v76 quad_perm:[1,0,3,2] row_mask:0xf bank_mask:0xf// 00000000ABA4: 7E2402FA FF00B14C
	v_perm_b32 v52, v18, v76, v17                              // 00000000ABAC: D1ED0034 04469912
	v_mov_b32_dpp v18, v77 quad_perm:[1,0,3,2] row_mask:0xf bank_mask:0xf// 00000000ABB4: 7E2402FA FF00B14D
	v_perm_b32 v53, v18, v77, v17                              // 00000000ABBC: D1ED0035 04469B12
	v_mov_b32_dpp v18, v78 quad_perm:[1,0,3,2] row_mask:0xf bank_mask:0xf// 00000000ABC4: 7E2402FA FF00B14E
	v_perm_b32 v54, v18, v78, v17                              // 00000000ABCC: D1ED0036 04469D12
	v_mfma_f32_16x16x16_bf16 v[204:207], v[128:129], v[166:167], v[204:207]// 00000000ABD4: D3E100CC 07334D80
	ds_write_b32 v20, v52 offset:17408                         // 00000000ABDC: D81A4400 00003414
	ds_write_b32 v20, v53 offset:17952                         // 00000000ABE4: D81A4620 00003514
	v_mfma_f32_16x16x16_bf16 v[208:211], v[130:131], v[166:167], v[208:211]// 00000000ABEC: D3E100D0 07434D82
	v_mov_b32_dpp v18, v79 quad_perm:[1,0,3,2] row_mask:0xf bank_mask:0xf// 00000000ABF4: 7E2402FA FF00B14F
	v_perm_b32 v55, v18, v79, v17                              // 00000000ABFC: D1ED0037 04469F12
	v_mov_b32_dpp v18, v80 quad_perm:[1,0,3,2] row_mask:0xf bank_mask:0xf// 00000000AC04: 7E2402FA FF00B150
	v_perm_b32 v56, v18, v80, v17                              // 00000000AC0C: D1ED0038 0446A112
	v_mov_b32_dpp v18, v81 quad_perm:[1,0,3,2] row_mask:0xf bank_mask:0xf// 00000000AC14: 7E2402FA FF00B151
	v_perm_b32 v57, v18, v81, v17                              // 00000000AC1C: D1ED0039 0446A312
	v_mfma_f32_16x16x16_bf16 v[212:215], v[124:125], v[168:169], v[212:215]// 00000000AC24: D3E100D4 0753517C
	ds_write_b32 v20, v54 offset:19712                         // 00000000AC2C: D81A4D00 00003614
	ds_write_b32 v20, v55 offset:20256                         // 00000000AC34: D81A4F20 00003714
	v_mfma_f32_16x16x16_bf16 v[216:219], v[126:127], v[168:169], v[216:219]// 00000000AC3C: D3E100D8 0763517E
	v_subrev_f32_dpp v88, v177, v88 quad_perm:[0,0,0,0] row_mask:0xf bank_mask:0xf// 00000000AC44: 06B0B0FA FF0000B1
	v_subrev_f32_dpp v89, v177, v89 quad_perm:[1,1,1,1] row_mask:0xf bank_mask:0xf// 00000000AC4C: 06B2B2FA FF0055B1
	v_subrev_f32_dpp v90, v177, v90 quad_perm:[2,2,2,2] row_mask:0xf bank_mask:0xf// 00000000AC54: 06B4B4FA FF00AAB1
	v_subrev_f32_dpp v91, v177, v91 quad_perm:[3,3,3,3] row_mask:0xf bank_mask:0xf// 00000000AC5C: 06B6B6FA FF00FFB1
	v_subrev_f32_dpp v92, v177, v92 quad_perm:[0,0,0,0] row_mask:0xf bank_mask:0xf// 00000000AC64: 06B8B8FA FF0000B1
	v_subrev_f32_dpp v93, v177, v93 quad_perm:[1,1,1,1] row_mask:0xf bank_mask:0xf// 00000000AC6C: 06BABAFA FF0055B1
	v_mfma_f32_16x16x16_bf16 v[220:223], v[128:129], v[168:169], v[220:223]// 00000000AC74: D3E100DC 07735180
	ds_write_b32 v20, v56 offset:22016                         // 00000000AC7C: D81A5600 00003814
	ds_write_b32 v20, v57 offset:22560                         // 00000000AC84: D81A5820 00003914
	v_mfma_f32_16x16x16_bf16 v[224:227], v[130:131], v[168:169], v[224:227]// 00000000AC8C: D3E100E0 07835182
	v_subrev_f32_dpp v94, v177, v94 quad_perm:[2,2,2,2] row_mask:0xf bank_mask:0xf// 00000000AC94: 06BCBCFA FF00AAB1
	v_subrev_f32_dpp v95, v177, v95 quad_perm:[3,3,3,3] row_mask:0xf bank_mask:0xf// 00000000AC9C: 06BEBEFA FF00FFB1
	v_subrev_f32_dpp v96, v177, v96 quad_perm:[0,0,0,0] row_mask:0xf bank_mask:0xf// 00000000ACA4: 06C0C0FA FF0000B1
	v_subrev_f32_dpp v97, v177, v97 quad_perm:[1,1,1,1] row_mask:0xf bank_mask:0xf// 00000000ACAC: 06C2C2FA FF0055B1
	v_subrev_f32_dpp v98, v177, v98 quad_perm:[2,2,2,2] row_mask:0xf bank_mask:0xf// 00000000ACB4: 06C4C4FA FF00AAB1
	v_subrev_f32_dpp v99, v177, v99 quad_perm:[3,3,3,3] row_mask:0xf bank_mask:0xf// 00000000ACBC: 06C6C6FA FF00FFB1
	v_mfma_f32_16x16x16_bf16 v[180:183], v[132:133], v[170:171], v[180:183]// 00000000ACC4: D3E100B4 06D35584
	v_mul_f32_e32 v88, v64, v88                                // 00000000ACCC: 0AB0B140
	v_mul_f32_e32 v89, v65, v89                                // 00000000ACD0: 0AB2B341
	v_mul_f32_e32 v90, v66, v90                                // 00000000ACD4: 0AB4B542
	v_mul_f32_e32 v91, v67, v91                                // 00000000ACD8: 0AB6B743
	v_mul_f32_e32 v92, v68, v92                                // 00000000ACDC: 0AB8B944
	v_mul_f32_e32 v93, v69, v93                                // 00000000ACE0: 0ABABB45
	v_mfma_f32_16x16x16_bf16 v[184:187], v[134:135], v[170:171], v[184:187]// 00000000ACE4: D3E100B8 06E35586
	v_mul_f32_e32 v94, v70, v94                                // 00000000ACEC: 0ABCBD46
	v_mul_f32_e32 v95, v71, v95                                // 00000000ACF0: 0ABEBF47
	v_mul_f32_e32 v96, v72, v96                                // 00000000ACF4: 0AC0C148
	v_mul_f32_e32 v97, v73, v97                                // 00000000ACF8: 0AC2C349
	v_mul_f32_e32 v98, v74, v98                                // 00000000ACFC: 0AC4C54A
	v_mul_f32_e32 v99, v75, v99                                // 00000000AD00: 0AC6C74B
	v_mfma_f32_16x16x16_bf16 v[188:191], v[136:137], v[170:171], v[188:191]// 00000000AD04: D3E100BC 06F35588
	v_cmp_u_f32_e64 s[78:79], v88, v88                         // 00000000AD0C: D048004E 0002B158
	v_bfe_u32 v228, v88, 16, 1                                 // 00000000AD14: D1C800E4 02052158
	v_add3_u32 v228, v88, v228, v231                           // 00000000AD1C: D1FF00E4 079FC958
	v_cndmask_b32_e64 v32, v228, v230, s[78:79]                // 00000000AD24: D1000020 013BCDE4
	v_lshrrev_b32_e32 v32, 16, v32                             // 00000000AD2C: 20404090
	v_cmp_u_f32_e64 s[78:79], v89, v89                         // 00000000AD30: D048004E 0002B359
	v_bfe_u32 v228, v89, 16, 1                                 // 00000000AD38: D1C800E4 02052159
	v_add3_u32 v228, v89, v228, v231                           // 00000000AD40: D1FF00E4 079FC959
	v_cndmask_b32_e64 v33, v228, v230, s[78:79]                // 00000000AD48: D1000021 013BCDE4
	v_and_or_b32 v82, v33, v229, v32                           // 00000000AD50: D2010052 0483CB21
	v_cmp_u_f32_e64 s[78:79], v90, v90                         // 00000000AD58: D048004E 0002B55A
	v_bfe_u32 v228, v90, 16, 1                                 // 00000000AD60: D1C800E4 0205215A
	v_add3_u32 v228, v90, v228, v231                           // 00000000AD68: D1FF00E4 079FC95A
	v_cndmask_b32_e64 v32, v228, v230, s[78:79]                // 00000000AD70: D1000020 013BCDE4
	v_lshrrev_b32_e32 v32, 16, v32                             // 00000000AD78: 20404090
	v_cmp_u_f32_e64 s[78:79], v91, v91                         // 00000000AD7C: D048004E 0002B75B
	v_bfe_u32 v228, v91, 16, 1                                 // 00000000AD84: D1C800E4 0205215B
	v_add3_u32 v228, v91, v228, v231                           // 00000000AD8C: D1FF00E4 079FC95B
	v_cndmask_b32_e64 v33, v228, v230, s[78:79]                // 00000000AD94: D1000021 013BCDE4
	v_and_or_b32 v83, v33, v229, v32                           // 00000000AD9C: D2010053 0483CB21
	v_cmp_u_f32_e64 s[78:79], v92, v92                         // 00000000ADA4: D048004E 0002B95C
	v_bfe_u32 v228, v92, 16, 1                                 // 00000000ADAC: D1C800E4 0205215C
	v_add3_u32 v228, v92, v228, v231                           // 00000000ADB4: D1FF00E4 079FC95C
	v_cndmask_b32_e64 v32, v228, v230, s[78:79]                // 00000000ADBC: D1000020 013BCDE4
	v_lshrrev_b32_e32 v32, 16, v32                             // 00000000ADC4: 20404090
	v_cmp_u_f32_e64 s[78:79], v93, v93                         // 00000000ADC8: D048004E 0002BB5D
	v_bfe_u32 v228, v93, 16, 1                                 // 00000000ADD0: D1C800E4 0205215D
	v_add3_u32 v228, v93, v228, v231                           // 00000000ADD8: D1FF00E4 079FC95D
	v_cndmask_b32_e64 v33, v228, v230, s[78:79]                // 00000000ADE0: D1000021 013BCDE4
	v_and_or_b32 v84, v33, v229, v32                           // 00000000ADE8: D2010054 0483CB21
	v_cmp_u_f32_e64 s[78:79], v94, v94                         // 00000000ADF0: D048004E 0002BD5E
	v_bfe_u32 v228, v94, 16, 1                                 // 00000000ADF8: D1C800E4 0205215E
	v_add3_u32 v228, v94, v228, v231                           // 00000000AE00: D1FF00E4 079FC95E
	v_cndmask_b32_e64 v32, v228, v230, s[78:79]                // 00000000AE08: D1000020 013BCDE4
	v_lshrrev_b32_e32 v32, 16, v32                             // 00000000AE10: 20404090
	v_cmp_u_f32_e64 s[78:79], v95, v95                         // 00000000AE14: D048004E 0002BF5F
	v_bfe_u32 v228, v95, 16, 1                                 // 00000000AE1C: D1C800E4 0205215F
	v_add3_u32 v228, v95, v228, v231                           // 00000000AE24: D1FF00E4 079FC95F
	v_cndmask_b32_e64 v33, v228, v230, s[78:79]                // 00000000AE2C: D1000021 013BCDE4
	v_and_or_b32 v85, v33, v229, v32                           // 00000000AE34: D2010055 0483CB21
	v_cmp_u_f32_e64 s[78:79], v96, v96                         // 00000000AE3C: D048004E 0002C160
	v_bfe_u32 v228, v96, 16, 1                                 // 00000000AE44: D1C800E4 02052160
	v_add3_u32 v228, v96, v228, v231                           // 00000000AE4C: D1FF00E4 079FC960
	v_cndmask_b32_e64 v32, v228, v230, s[78:79]                // 00000000AE54: D1000020 013BCDE4
	v_lshrrev_b32_e32 v32, 16, v32                             // 00000000AE5C: 20404090
	v_cmp_u_f32_e64 s[78:79], v97, v97                         // 00000000AE60: D048004E 0002C361
	v_bfe_u32 v228, v97, 16, 1                                 // 00000000AE68: D1C800E4 02052161
	v_add3_u32 v228, v97, v228, v231                           // 00000000AE70: D1FF00E4 079FC961
	v_cndmask_b32_e64 v33, v228, v230, s[78:79]                // 00000000AE78: D1000021 013BCDE4
	v_and_or_b32 v86, v33, v229, v32                           // 00000000AE80: D2010056 0483CB21
	v_cmp_u_f32_e64 s[78:79], v98, v98                         // 00000000AE88: D048004E 0002C562
	v_bfe_u32 v228, v98, 16, 1                                 // 00000000AE90: D1C800E4 02052162
	v_add3_u32 v228, v98, v228, v231                           // 00000000AE98: D1FF00E4 079FC962
	v_cndmask_b32_e64 v32, v228, v230, s[78:79]                // 00000000AEA0: D1000020 013BCDE4
	v_lshrrev_b32_e32 v32, 16, v32                             // 00000000AEA8: 20404090
	v_cmp_u_f32_e64 s[78:79], v99, v99                         // 00000000AEAC: D048004E 0002C763
	v_bfe_u32 v228, v99, 16, 1                                 // 00000000AEB4: D1C800E4 02052163
	v_add3_u32 v228, v99, v228, v231                           // 00000000AEBC: D1FF00E4 079FC963
	v_cndmask_b32_e64 v33, v228, v230, s[78:79]                // 00000000AEC4: D1000021 013BCDE4
	v_and_or_b32 v87, v33, v229, v32                           // 00000000AECC: D2010057 0483CB21
	v_mfma_f32_16x16x16_bf16 v[192:195], v[138:139], v[170:171], v[192:195]// 00000000AED4: D3E100C0 0703558A
	v_mov_b32_dpp v18, v82 quad_perm:[1,0,3,2] row_mask:0xf bank_mask:0xf// 00000000AEDC: 7E2402FA FF00B152
	v_perm_b32 v58, v18, v82, v17                              // 00000000AEE4: D1ED003A 0446A512
	v_mov_b32_dpp v18, v83 quad_perm:[1,0,3,2] row_mask:0xf bank_mask:0xf// 00000000AEEC: 7E2402FA FF00B153
	v_perm_b32 v59, v18, v83, v17                              // 00000000AEF4: D1ED003B 0446A712
	v_mov_b32_dpp v18, v84 quad_perm:[1,0,3,2] row_mask:0xf bank_mask:0xf// 00000000AEFC: 7E2402FA FF00B154
	v_perm_b32 v60, v18, v84, v17                              // 00000000AF04: D1ED003C 0446A912
	v_mfma_f32_16x16x16_bf16 v[196:199], v[132:133], v[172:173], v[196:199]// 00000000AF0C: D3E100C4 07135984
	ds_write_b32 v20, v58 offset:24320                         // 00000000AF14: D81A5F00 00003A14
	ds_write_b32 v20, v59 offset:24864                         // 00000000AF1C: D81A6120 00003B14
	v_mfma_f32_16x16x16_bf16 v[200:203], v[134:135], v[172:173], v[200:203]// 00000000AF24: D3E100C8 07235986
	v_mov_b32_dpp v18, v85 quad_perm:[1,0,3,2] row_mask:0xf bank_mask:0xf// 00000000AF2C: 7E2402FA FF00B155
	v_perm_b32 v61, v18, v85, v17                              // 00000000AF34: D1ED003D 0446AB12
	v_mov_b32_dpp v18, v86 quad_perm:[1,0,3,2] row_mask:0xf bank_mask:0xf// 00000000AF3C: 7E2402FA FF00B156
	v_perm_b32 v62, v18, v86, v17                              // 00000000AF44: D1ED003E 0446AD12
	v_mov_b32_dpp v18, v87 quad_perm:[1,0,3,2] row_mask:0xf bank_mask:0xf// 00000000AF4C: 7E2402FA FF00B157
	v_perm_b32 v63, v18, v87, v17                              // 00000000AF54: D1ED003F 0446AF12
	v_mfma_f32_16x16x16_bf16 v[204:207], v[136:137], v[172:173], v[204:207]// 00000000AF5C: D3E100CC 07335988
	ds_write_b32 v20, v60 offset:26624                         // 00000000AF64: D81A6800 00003C14
	ds_write_b32 v20, v61 offset:27168                         // 00000000AF6C: D81A6A20 00003D14
	ds_write_b32 v20, v62 offset:28928                         // 00000000AF74: D81A7100 00003E14
	ds_write_b32 v20, v63 offset:29472                         // 00000000AF7C: D81A7320 00003F14
	v_mfma_f32_16x16x16_bf16 v[208:211], v[138:139], v[172:173], v[208:211]// 00000000AF84: D3E100D0 0743598A
	v_mfma_f32_16x16x16_bf16 v[212:215], v[132:133], v[174:175], v[212:215]// 00000000AF8C: D3E100D4 07535D84
	ds_write_b32 v15, v100 offset:4352                         // 00000000AF94: D81A1100 0000640F
	ds_write_b32 v15, v101 offset:5408                         // 00000000AF9C: D81A1520 0000650F
	v_mfma_f32_16x16x16_bf16 v[216:219], v[134:135], v[174:175], v[216:219]// 00000000AFA4: D3E100D8 07635D86
	v_mfma_f32_16x16x16_bf16 v[220:223], v[136:137], v[174:175], v[220:223]// 00000000AFAC: D3E100DC 07735D88
	ds_write_b32 v15, v102 offset:6528                         // 00000000AFB4: D81A1980 0000660F
	ds_write_b32 v15, v103 offset:7584                         // 00000000AFBC: D81A1DA0 0000670F
	v_mfma_f32_16x16x16_bf16 v[224:227], v[138:139], v[174:175], v[224:227]// 00000000AFC4: D3E100E0 07835D8A
	s_nop 0                                                    // 00000000AFCC: BF800000
	s_nop 0                                                    // 00000000AFD0: BF800000
	s_nop 0                                                    // 00000000AFD4: BF800000
	s_barrier                                                  // 00000000AFD8: BF8A0000
	v_mfma_f32_16x16x16_bf16 a[112:115], a[96:97], v[76:77], a[112:115]// 00000000AFDC: D3E18070 0DC29960
	ds_read_b32 v140, v23 offset:39424                         // 00000000AFE4: D86C9A00 8C000017
	ds_read_b32 v144, v23 offset:39488                         // 00000000AFEC: D86C9A40 90000017
	ds_read_b32 v176, v23 offset:39680                         // 00000000AFF4: D86C9B00 B0000017
	ds_read_b32 v177, v23 offset:39744                         // 00000000AFFC: D86C9B40 B1000017
	v_mfma_f32_16x16x16_bf16 a[116:119], a[98:99], v[76:77], a[116:119]// 00000000B004: D3E18074 0DD29962
	buffer_atomic_add_f32 v156, v6, s[32:35], 0 idxen          // 00000000B00C: E1342000 80089C06
	v_mfma_f32_16x16x16_bf16 a[120:123], a[100:101], v[76:77], a[120:123]// 00000000B014: D3E18078 0DE29964
	s_waitcnt lgkmcnt(8)                                       // 00000000B01C: BF8CC87F
	s_barrier                                                  // 00000000B020: BF8A0000
	v_mfma_f32_16x16x16_bf16 a[124:127], a[102:103], v[76:77], a[124:127]// 00000000B024: D3E1807C 0DF29966
	v_mfma_f32_16x16x16_bf16 a[128:131], a[96:97], v[78:79], a[128:131]// 00000000B02C: D3E18080 0E029D60
	ds_read_b128 v[52:55], v19 offset:17408                    // 00000000B034: D9FE4400 34000013
	v_mfma_f32_16x16x16_bf16 a[132:135], a[98:99], v[78:79], a[132:135]// 00000000B03C: D3E18084 0E129D62
	v_mfma_f32_16x16x16_bf16 a[136:139], a[100:101], v[78:79], a[136:139]// 00000000B044: D3E18088 0E229D64
	ds_read_b128 v[56:59], v19 offset:18560                    // 00000000B04C: D9FE4880 38000013
	v_mfma_f32_16x16x16_bf16 a[140:143], a[102:103], v[78:79], a[140:143]// 00000000B054: D3E1808C 0E329D66
	buffer_atomic_add_f32 v157, v7, s[32:35], 0 idxen          // 00000000B05C: E1342000 80089D07
	v_mfma_f32_16x16x16_bf16 a[144:147], a[96:97], v[80:81], a[144:147]// 00000000B064: D3E18090 0E42A160
	ds_read_b128 v[60:63], v19 offset:19712                    // 00000000B06C: D9FE4D00 3C000013
	v_mfma_f32_16x16x16_bf16 a[148:151], a[98:99], v[80:81], a[148:151]// 00000000B074: D3E18094 0E52A162
	v_mfma_f32_16x16x16_bf16 a[152:155], a[100:101], v[80:81], a[152:155]// 00000000B07C: D3E18098 0E62A164
	ds_read_b128 v[64:67], v19 offset:20864                    // 00000000B084: D9FE5180 40000013
	v_mfma_f32_16x16x16_bf16 a[156:159], a[102:103], v[80:81], a[156:159]// 00000000B08C: D3E1809C 0E72A166
	v_mfma_f32_16x16x16_bf16 a[112:115], a[104:105], v[82:83], a[112:115]// 00000000B094: D3E18070 0DC2A568
	ds_read_b128 v[68:71], v19 offset:22016                    // 00000000B09C: D9FE5600 44000013
	v_mfma_f32_16x16x16_bf16 a[116:119], a[106:107], v[82:83], a[116:119]// 00000000B0A4: D3E18074 0DD2A56A
	buffer_atomic_add_f32 v158, v6, s[32:35], 0 idxen offset:128// 00000000B0AC: E1342080 80089E06
	v_mfma_f32_16x16x16_bf16 a[120:123], a[108:109], v[82:83], a[120:123]// 00000000B0B4: D3E18078 0DE2A56C
	ds_read_b128 v[72:75], v19 offset:23168                    // 00000000B0BC: D9FE5A80 48000013
	v_mfma_f32_16x16x16_bf16 a[124:127], a[110:111], v[82:83], a[124:127]// 00000000B0C4: D3E1807C 0DF2A56E
	v_mfma_f32_16x16x16_bf16 a[128:131], a[104:105], v[84:85], a[128:131]// 00000000B0CC: D3E18080 0E02A968
	ds_write_b32 v15, v104 offset:13056                        // 00000000B0D4: D81A3300 0000680F
	v_mfma_f32_16x16x16_bf16 a[132:135], a[106:107], v[84:85], a[132:135]// 00000000B0DC: D3E18084 0E12A96A
	v_mfma_f32_16x16x16_bf16 a[136:139], a[108:109], v[84:85], a[136:139]// 00000000B0E4: D3E18088 0E22A96C
	ds_write_b32 v15, v105 offset:14112                        // 00000000B0EC: D81A3720 0000690F
	v_mfma_f32_16x16x16_bf16 a[140:143], a[110:111], v[84:85], a[140:143]// 00000000B0F4: D3E1808C 0E32A96E
	buffer_atomic_add_f32 v159, v7, s[32:35], 0 idxen offset:128// 00000000B0FC: E1342080 80089F07
	v_mfma_f32_16x16x16_bf16 a[144:147], a[104:105], v[86:87], a[144:147]// 00000000B104: D3E18090 0E42AD68
	ds_write_b32 v15, v106 offset:15232                        // 00000000B10C: D81A3B80 00006A0F
	v_mfma_f32_16x16x16_bf16 a[148:151], a[106:107], v[86:87], a[148:151]// 00000000B114: D3E18094 0E52AD6A
	v_mfma_f32_16x16x16_bf16 a[152:155], a[108:109], v[86:87], a[152:155]// 00000000B11C: D3E18098 0E62AD6C
	ds_write_b32 v15, v107 offset:16288                        // 00000000B124: D81A3FA0 00006B0F
	v_mfma_f32_16x16x16_bf16 a[156:159], a[110:111], v[86:87], a[156:159]// 00000000B12C: D3E1809C 0E72AD6E
	s_waitcnt vmcnt(8) lgkmcnt(4)                              // 00000000B134: BF8C0478
	s_barrier                                                  // 00000000B138: BF8A0000
	v_mfma_f32_16x16x16_bf16 v[148:151], v[52:53], a[24:25], 0 // 00000000B13C: D3E10094 12023134
	ds_read_b128 a[96:99], v12                                 // 00000000B144: DBFE0000 6000000C
	buffer_load_dword v36, v1, s[8:11], 0 idxen                // 00000000B14C: E0502000 80022401
	v_mfma_f32_16x16x16_bf16 v[148:151], v[54:55], a[28:29], v[148:151]// 00000000B154: D3E10094 16523936
	v_mul_f32_e32 v140, s48, v140                              // 00000000B15C: 0B191830
	v_mul_f32_e32 v144, s48, v144                              // 00000000B160: 0B212030
	s_nop 0                                                    // 00000000B164: BF800000
	v_mfma_f32_16x16x16_bf16 v[148:151], v[56:57], a[32:33], v[148:151]// 00000000B168: D3E10094 16524138
	ds_read_b128 a[100:103], v12 offset:512                    // 00000000B170: DBFE0200 6400000C
	buffer_load_dword v37, v2, s[8:11], 0 idxen                // 00000000B178: E0502000 80022502
	v_mfma_f32_16x16x16_bf16 v[148:151], v[58:59], a[36:37], v[148:151]// 00000000B180: D3E10094 1652493A
	v_mfma_f32_16x16x16_bf16 v[148:151], v[60:61], a[40:41], v[148:151]// 00000000B188: D3E10094 1652513C
	ds_read_b128 a[104:107], v12 offset:2176                   // 00000000B190: DBFE0880 6800000C
	buffer_load_dword v38, v3, s[8:11], 0 idxen                // 00000000B198: E0502000 80022603
	v_mfma_f32_16x16x16_bf16 v[148:151], v[62:63], a[44:45], v[148:151]// 00000000B1A0: D3E10094 1652593E
	v_perm_b32 v100, v41, v40, s63                             // 00000000B1A8: D1ED0064 00FE5129
	v_perm_b32 v101, v41, v40, s64                             // 00000000B1B0: D1ED0065 01025129
	v_mfma_f32_16x16x16_bf16 v[148:151], v[64:65], a[48:49], v[148:151]// 00000000B1B8: D3E10094 16526140
	ds_read_b128 a[108:111], v12 offset:2688                   // 00000000B1C0: DBFE0A80 6C00000C
	buffer_load_dword v39, v4, s[8:11], 0 idxen                // 00000000B1C8: E0502000 80022704
	v_mfma_f32_16x16x16_bf16 v[148:151], v[66:67], a[52:53], v[148:151]// 00000000B1D0: D3E10094 16526942
	v_perm_b32 v102, v43, v42, s63                             // 00000000B1D8: D1ED0066 00FE552B
	v_perm_b32 v103, v43, v42, s64                             // 00000000B1E0: D1ED0067 0102552B
	v_mfma_f32_16x16x16_bf16 v[148:151], v[68:69], a[56:57], v[148:151]// 00000000B1E8: D3E10094 16527144
	ds_read_b128 v[108:111], v12 offset:8704                   // 00000000B1F0: D9FE2200 6C00000C
	buffer_load_dword v44, v232, s[20:23], 0 idxen             // 00000000B1F8: E0502000 80052CE8
	v_mfma_f32_16x16x16_bf16 v[148:151], v[70:71], a[60:61], v[148:151]// 00000000B200: D3E10094 16527946
	v_perm_b32 v104, v49, v48, s63                             // 00000000B208: D1ED0068 00FE6131
	v_perm_b32 v105, v49, v48, s64                             // 00000000B210: D1ED0069 01026131
	v_mfma_f32_16x16x16_bf16 v[148:151], v[72:73], a[64:65], v[148:151]// 00000000B218: D3E10094 16528148
	ds_read_b128 v[112:115], v12 offset:9216                   // 00000000B220: D9FE2400 7000000C
	buffer_load_dword v45, v233, s[20:23], 0 idxen             // 00000000B228: E0502000 80052DE9
	v_mfma_f32_16x16x16_bf16 v[148:151], v[74:75], a[68:69], v[148:151]// 00000000B230: D3E10094 1652894A
	v_perm_b32 v106, v51, v50, s63                             // 00000000B238: D1ED006A 00FE6533
	v_perm_b32 v107, v51, v50, s64                             // 00000000B240: D1ED006B 01026533
	v_mfma_f32_16x16x16_bf16 v[152:155], v[52:53], a[26:27], 0 // 00000000B248: D3E10098 12023534
	ds_read_b128 v[116:119], v12 offset:10880                  // 00000000B250: D9FE2A80 7400000C
	buffer_load_dword v46, v234, s[20:23], 0 idxen             // 00000000B258: E0502000 80052EEA
	v_mfma_f32_16x16x16_bf16 v[152:155], v[54:55], a[30:31], v[152:155]// 00000000B260: D3E10098 16623D36
	v_mov_b32_dpp v143, v140 quad_perm:[3,3,3,3] row_mask:0xf bank_mask:0xf// 00000000B268: 7F1E02FA FF00FF8C
	v_mov_b32_dpp v142, v140 quad_perm:[2,2,2,2] row_mask:0xf bank_mask:0xf// 00000000B270: 7F1C02FA FF00AA8C
	v_mov_b32_dpp v141, v140 quad_perm:[1,1,1,1] row_mask:0xf bank_mask:0xf// 00000000B278: 7F1A02FA FF00558C
	v_mov_b32_dpp v140, v140 quad_perm:[0,0,0,0] row_mask:0xf bank_mask:0xf// 00000000B280: 7F1802FA FF00008C
	v_mfma_f32_16x16x16_bf16 v[152:155], v[56:57], a[34:35], v[152:155]// 00000000B288: D3E10098 16624538
	ds_read_b128 v[120:123], v12 offset:11392                  // 00000000B290: D9FE2C80 7800000C
	buffer_load_dword v47, v235, s[20:23], 0 idxen             // 00000000B298: E0502000 80052FEB
	v_mfma_f32_16x16x16_bf16 v[152:155], v[58:59], a[38:39], v[152:155]// 00000000B2A0: D3E10098 16624D3A
	v_mov_b32_dpp v147, v144 quad_perm:[3,3,3,3] row_mask:0xf bank_mask:0xf// 00000000B2A8: 7F2602FA FF00FF90
	v_mov_b32_dpp v146, v144 quad_perm:[2,2,2,2] row_mask:0xf bank_mask:0xf// 00000000B2B0: 7F2402FA FF00AA90
	v_mov_b32_dpp v145, v144 quad_perm:[1,1,1,1] row_mask:0xf bank_mask:0xf// 00000000B2B8: 7F2202FA FF005590
	v_mov_b32_dpp v144, v144 quad_perm:[0,0,0,0] row_mask:0xf bank_mask:0xf// 00000000B2C0: 7F2002FA FF000090
	s_add_u32 s60, 0x80, s59                                   // 00000000B2C8: 803C3BFF 00000080
	v_mfma_f32_16x16x16_bf16 v[152:155], v[60:61], a[42:43], v[152:155]// 00000000B2D0: D3E10098 1662553C
	buffer_load_dword v11, s[24:27], 0 idxen lds               // 00000000B2D8: E0512000 8006000B
	v_mfma_f32_16x16x16_bf16 v[152:155], v[62:63], a[46:47], v[152:155]// 00000000B2E0: D3E10098 16625D3E
	s_cmp_lt_u32 s60, s58                                      // 00000000B2E8: BF0A3A3C
	s_cselect_b32 s68, s68, 0                                  // 00000000B2EC: 85448044
	s_cselect_b32 s99, s99, 0                                  // 00000000B2F0: 85638063
	s_cselect_b32 s69, s69, 0                                  // 00000000B2F4: 85458045
	v_mfma_f32_16x16x16_bf16 v[152:155], v[64:65], a[50:51], v[152:155]// 00000000B2F8: D3E10098 16626540
	v_add_u32_e32 v1, s68, v1                                  // 00000000B300: 68020244
	v_add_u32_e32 v2, s68, v2                                  // 00000000B304: 68040444
	v_add_u32_e32 v3, s68, v3                                  // 00000000B308: 68060644
	v_add_u32_e32 v4, s68, v4                                  // 00000000B30C: 68080844
	v_mfma_f32_16x16x16_bf16 v[152:155], v[66:67], a[54:55], v[152:155]// 00000000B310: D3E10098 16626D42
	v_add_u32_e32 v232, s99, v232                              // 00000000B318: 69D1D063
	v_add_u32_e32 v233, s99, v233                              // 00000000B31C: 69D3D263
	v_add_u32_e32 v234, s99, v234                              // 00000000B320: 69D5D463
	v_add_u32_e32 v235, s99, v235                              // 00000000B324: 69D7D663
	v_mfma_f32_16x16x16_bf16 v[152:155], v[68:69], a[58:59], v[152:155]// 00000000B328: D3E10098 16627544
	s_mov_b32 m0, s81                                          // 00000000B330: BEFC0051
	v_add_u32_e32 v11, s69, v11                                // 00000000B334: 68161645
	v_mfma_f32_16x16x16_bf16 v[152:155], v[70:71], a[62:63], v[152:155]// 00000000B338: D3E10098 16627D46
	s_cmp_ge_u32 s59, s73                                      // 00000000B340: BF09493B
	s_cselect_b32 s66, s67, s66                                // 00000000B344: 85424243
	v_mfma_f32_16x16x16_bf16 v[152:155], v[72:73], a[66:67], v[152:155]// 00000000B348: D3E10098 16628548
	s_addk_i32 s59, 0x20                                       // 00000000B350: B73B0020
	s_nop 0                                                    // 00000000B354: BF800000
	s_cmp_lt_i32 s59, s58                                      // 00000000B358: BF043A3B
	v_mfma_f32_16x16x16_bf16 v[152:155], v[74:75], a[70:71], v[152:155]// 00000000B35C: D3E10098 16628D4A
	s_cbranch_scc0 label_11E5                                  // 00000000B364: BF84F479
	s_branch label_11E8                                        // 00000000B368: BF82F47B

000000000000b36c <label_1D7F>:
	buffer_atomic_add_f32 v160, v8, s[32:35], 0 idxen          // 00000000B36C: E1342000 8008A008
	buffer_atomic_add_f32 v161, v9, s[32:35], 0 idxen          // 00000000B374: E1342000 8008A109
	buffer_atomic_add_f32 v162, v8, s[32:35], 0 idxen offset:128// 00000000B37C: E1342080 8008A208
	buffer_atomic_add_f32 v163, v9, s[32:35], 0 idxen offset:128// 00000000B384: E1342080 8008A309
	v_add_u32_e32 v6, s66, v6                                  // 00000000B38C: 680C0C42
	v_add_u32_e32 v7, s66, v7                                  // 00000000B390: 680E0E42
	v_add_u32_e32 v8, s66, v8                                  // 00000000B394: 68101042
	v_add_u32_e32 v9, s66, v9                                  // 00000000B398: 68121242
	v_lshrrev_b32_e32 v32, 5, v0                               // 00000000B39C: 20400085
	v_mul_i32_i24_e32 v27, 0x44, v32                           // 00000000B3A0: 0C3640FF 00000044
	v_and_b32_e32 v32, 31, v0                                  // 00000000B3A8: 2640009F
	v_mul_i32_i24_e32 v33, 2, v32                              // 00000000B3AC: 0C424082
	v_add_u32_e32 v27, v33, v27                                // 00000000B3B0: 68363721
	s_mul_i32 s60, s46, 0x220                                  // 00000000B3B4: 923CFF2E 00000220
	v_add_u32_e32 v27, s60, v27                                // 00000000B3BC: 6836363C
	v_lshlrev_b32_e32 v27, 2, v27                              // 00000000B3C0: 24363682
	v_mul_f32_e32 v148, s47, v148                              // 00000000B3C4: 0B29282F
	v_mul_f32_e32 v149, s47, v149                              // 00000000B3C8: 0B2B2A2F
	v_mul_f32_e32 v150, s47, v150                              // 00000000B3CC: 0B2D2C2F
	v_mul_f32_e32 v151, s47, v151                              // 00000000B3D0: 0B2F2E2F
	v_mul_f32_e32 v152, s47, v152                              // 00000000B3D4: 0B31302F
	v_mul_f32_e32 v153, s47, v153                              // 00000000B3D8: 0B33322F
	v_mul_f32_e32 v154, s47, v154                              // 00000000B3DC: 0B35342F
	v_mul_f32_e32 v155, s47, v155                              // 00000000B3E0: 0B37362F
	ds_write_b64 v22, v[148:149] offset:31232                  // 00000000B3E4: D89A7A00 00009416
	ds_write_b64 v22, v[150:151] offset:31744                  // 00000000B3EC: D89A7C00 00009616
	ds_write_b64 v22, v[152:153] offset:32256                  // 00000000B3F4: D89A7E00 00009816
	ds_write_b64 v22, v[154:155] offset:32768                  // 00000000B3FC: D89A8000 00009A16
	s_waitcnt lgkmcnt(0)                                       // 00000000B404: BF8CC07F
	s_barrier                                                  // 00000000B408: BF8A0000
	ds_read_b64 v[156:157], v21 offset:31232                   // 00000000B40C: D8EC7A00 9C000015
	ds_read_b64 v[158:159], v21 offset:33280                   // 00000000B414: D8EC8200 9E000015
	ds_read_b64 v[160:161], v21 offset:35328                   // 00000000B41C: D8EC8A00 A0000015
	ds_read_b64 v[162:163], v21 offset:37376                   // 00000000B424: D8EC9200 A2000015
	s_waitcnt lgkmcnt(0)                                       // 00000000B42C: BF8CC07F
	s_barrier                                                  // 00000000B430: BF8A0000
	buffer_atomic_add_f32 v156, v6, s[32:35], 0 idxen          // 00000000B434: E1342000 80089C06
	buffer_atomic_add_f32 v157, v7, s[32:35], 0 idxen          // 00000000B43C: E1342000 80089D07
	buffer_atomic_add_f32 v158, v6, s[32:35], 0 idxen offset:128// 00000000B444: E1342080 80089E06
	buffer_atomic_add_f32 v159, v7, s[32:35], 0 idxen offset:128// 00000000B44C: E1342080 80089F07
	buffer_atomic_add_f32 v160, v8, s[32:35], 0 idxen          // 00000000B454: E1342000 8008A008
	buffer_atomic_add_f32 v161, v9, s[32:35], 0 idxen          // 00000000B45C: E1342000 8008A109
	buffer_atomic_add_f32 v162, v8, s[32:35], 0 idxen offset:128// 00000000B464: E1342080 8008A208
	buffer_atomic_add_f32 v163, v9, s[32:35], 0 idxen offset:128// 00000000B46C: E1342080 8008A309
	v_lshrrev_b32_e32 v32, 3, v0                               // 00000000B474: 20400083
	v_mul_i32_i24_e32 v26, 2, v32                              // 00000000B478: 0C344082
	v_and_b32_e32 v32, 7, v0                                   // 00000000B47C: 26400087
	v_mul_i32_i24_e32 v33, 0x44, v32                           // 00000000B480: 0C4240FF 00000044
	v_add_u32_e32 v26, v33, v26                                // 00000000B488: 68343521
	s_mul_i32 s60, s46, 0x220                                  // 00000000B48C: 923CFF2E 00000220
	v_add_u32_e32 v26, s60, v26                                // 00000000B494: 6834343C
	v_lshlrev_b32_e32 v26, 2, v26                              // 00000000B498: 24343482
	v_accvgpr_read_b32 v34, a112                               // 00000000B49C: D3D84022 18000170
	v_accvgpr_read_b32 v35, a113                               // 00000000B4A4: D3D84023 18000171
	v_mul_f32_e32 v34, s47, v34                                // 00000000B4AC: 0A44442F
	v_mul_f32_e32 v35, s47, v35                                // 00000000B4B0: 0A46462F
	v_cmp_u_f32_e64 s[78:79], v34, v34                         // 00000000B4B4: D048004E 00024522
	v_bfe_u32 v228, v34, 16, 1                                 // 00000000B4BC: D1C800E4 02052122
	v_add3_u32 v228, v34, v228, v231                           // 00000000B4C4: D1FF00E4 079FC922
	v_cndmask_b32_e64 v32, v228, v230, s[78:79]                // 00000000B4CC: D1000020 013BCDE4
	v_lshrrev_b32_e32 v32, 16, v32                             // 00000000B4D4: 20404090
	v_cmp_u_f32_e64 s[78:79], v35, v35                         // 00000000B4D8: D048004E 00024723
	v_bfe_u32 v228, v35, 16, 1                                 // 00000000B4E0: D1C800E4 02052123
	v_add3_u32 v228, v35, v228, v231                           // 00000000B4E8: D1FF00E4 079FC923
	v_cndmask_b32_e64 v33, v228, v230, s[78:79]                // 00000000B4F0: D1000021 013BCDE4
	v_and_or_b32 v52, v33, v229, v32                           // 00000000B4F8: D2010034 0483CB21
	v_accvgpr_read_b32 v34, a114                               // 00000000B500: D3D84022 18000172
	v_accvgpr_read_b32 v35, a115                               // 00000000B508: D3D84023 18000173
	v_mul_f32_e32 v34, s47, v34                                // 00000000B510: 0A44442F
	v_mul_f32_e32 v35, s47, v35                                // 00000000B514: 0A46462F
	v_cmp_u_f32_e64 s[78:79], v34, v34                         // 00000000B518: D048004E 00024522
	v_bfe_u32 v228, v34, 16, 1                                 // 00000000B520: D1C800E4 02052122
	v_add3_u32 v228, v34, v228, v231                           // 00000000B528: D1FF00E4 079FC922
	v_cndmask_b32_e64 v32, v228, v230, s[78:79]                // 00000000B530: D1000020 013BCDE4
	v_lshrrev_b32_e32 v32, 16, v32                             // 00000000B538: 20404090
	v_cmp_u_f32_e64 s[78:79], v35, v35                         // 00000000B53C: D048004E 00024723
	v_bfe_u32 v228, v35, 16, 1                                 // 00000000B544: D1C800E4 02052123
	v_add3_u32 v228, v35, v228, v231                           // 00000000B54C: D1FF00E4 079FC923
	v_cndmask_b32_e64 v33, v228, v230, s[78:79]                // 00000000B554: D1000021 013BCDE4
	v_and_or_b32 v53, v33, v229, v32                           // 00000000B55C: D2010035 0483CB21
	v_accvgpr_read_b32 v34, a116                               // 00000000B564: D3D84022 18000174
	v_accvgpr_read_b32 v35, a117                               // 00000000B56C: D3D84023 18000175
	v_mul_f32_e32 v34, s47, v34                                // 00000000B574: 0A44442F
	v_mul_f32_e32 v35, s47, v35                                // 00000000B578: 0A46462F
	v_cmp_u_f32_e64 s[78:79], v34, v34                         // 00000000B57C: D048004E 00024522
	v_bfe_u32 v228, v34, 16, 1                                 // 00000000B584: D1C800E4 02052122
	v_add3_u32 v228, v34, v228, v231                           // 00000000B58C: D1FF00E4 079FC922
	v_cndmask_b32_e64 v32, v228, v230, s[78:79]                // 00000000B594: D1000020 013BCDE4
	v_lshrrev_b32_e32 v32, 16, v32                             // 00000000B59C: 20404090
	v_cmp_u_f32_e64 s[78:79], v35, v35                         // 00000000B5A0: D048004E 00024723
	v_bfe_u32 v228, v35, 16, 1                                 // 00000000B5A8: D1C800E4 02052123
	v_add3_u32 v228, v35, v228, v231                           // 00000000B5B0: D1FF00E4 079FC923
	v_cndmask_b32_e64 v33, v228, v230, s[78:79]                // 00000000B5B8: D1000021 013BCDE4
	v_and_or_b32 v54, v33, v229, v32                           // 00000000B5C0: D2010036 0483CB21
	v_accvgpr_read_b32 v34, a118                               // 00000000B5C8: D3D84022 18000176
	v_accvgpr_read_b32 v35, a119                               // 00000000B5D0: D3D84023 18000177
	v_mul_f32_e32 v34, s47, v34                                // 00000000B5D8: 0A44442F
	v_mul_f32_e32 v35, s47, v35                                // 00000000B5DC: 0A46462F
	v_cmp_u_f32_e64 s[78:79], v34, v34                         // 00000000B5E0: D048004E 00024522
	v_bfe_u32 v228, v34, 16, 1                                 // 00000000B5E8: D1C800E4 02052122
	v_add3_u32 v228, v34, v228, v231                           // 00000000B5F0: D1FF00E4 079FC922
	v_cndmask_b32_e64 v32, v228, v230, s[78:79]                // 00000000B5F8: D1000020 013BCDE4
	v_lshrrev_b32_e32 v32, 16, v32                             // 00000000B600: 20404090
	v_cmp_u_f32_e64 s[78:79], v35, v35                         // 00000000B604: D048004E 00024723
	v_bfe_u32 v228, v35, 16, 1                                 // 00000000B60C: D1C800E4 02052123
	v_add3_u32 v228, v35, v228, v231                           // 00000000B614: D1FF00E4 079FC923
	v_cndmask_b32_e64 v33, v228, v230, s[78:79]                // 00000000B61C: D1000021 013BCDE4
	v_and_or_b32 v55, v33, v229, v32                           // 00000000B624: D2010037 0483CB21
	v_accvgpr_read_b32 v34, a120                               // 00000000B62C: D3D84022 18000178
	v_accvgpr_read_b32 v35, a121                               // 00000000B634: D3D84023 18000179
	v_mul_f32_e32 v34, s47, v34                                // 00000000B63C: 0A44442F
	v_mul_f32_e32 v35, s47, v35                                // 00000000B640: 0A46462F
	v_cmp_u_f32_e64 s[78:79], v34, v34                         // 00000000B644: D048004E 00024522
	v_bfe_u32 v228, v34, 16, 1                                 // 00000000B64C: D1C800E4 02052122
	v_add3_u32 v228, v34, v228, v231                           // 00000000B654: D1FF00E4 079FC922
	v_cndmask_b32_e64 v32, v228, v230, s[78:79]                // 00000000B65C: D1000020 013BCDE4
	v_lshrrev_b32_e32 v32, 16, v32                             // 00000000B664: 20404090
	v_cmp_u_f32_e64 s[78:79], v35, v35                         // 00000000B668: D048004E 00024723
	v_bfe_u32 v228, v35, 16, 1                                 // 00000000B670: D1C800E4 02052123
	v_add3_u32 v228, v35, v228, v231                           // 00000000B678: D1FF00E4 079FC923
	v_cndmask_b32_e64 v33, v228, v230, s[78:79]                // 00000000B680: D1000021 013BCDE4
	v_and_or_b32 v56, v33, v229, v32                           // 00000000B688: D2010038 0483CB21
	v_accvgpr_read_b32 v34, a122                               // 00000000B690: D3D84022 1800017A
	v_accvgpr_read_b32 v35, a123                               // 00000000B698: D3D84023 1800017B
	v_mul_f32_e32 v34, s47, v34                                // 00000000B6A0: 0A44442F
	v_mul_f32_e32 v35, s47, v35                                // 00000000B6A4: 0A46462F
	v_cmp_u_f32_e64 s[78:79], v34, v34                         // 00000000B6A8: D048004E 00024522
	v_bfe_u32 v228, v34, 16, 1                                 // 00000000B6B0: D1C800E4 02052122
	v_add3_u32 v228, v34, v228, v231                           // 00000000B6B8: D1FF00E4 079FC922
	v_cndmask_b32_e64 v32, v228, v230, s[78:79]                // 00000000B6C0: D1000020 013BCDE4
	v_lshrrev_b32_e32 v32, 16, v32                             // 00000000B6C8: 20404090
	v_cmp_u_f32_e64 s[78:79], v35, v35                         // 00000000B6CC: D048004E 00024723
	v_bfe_u32 v228, v35, 16, 1                                 // 00000000B6D4: D1C800E4 02052123
	v_add3_u32 v228, v35, v228, v231                           // 00000000B6DC: D1FF00E4 079FC923
	v_cndmask_b32_e64 v33, v228, v230, s[78:79]                // 00000000B6E4: D1000021 013BCDE4
	v_and_or_b32 v57, v33, v229, v32                           // 00000000B6EC: D2010039 0483CB21
	v_accvgpr_read_b32 v34, a124                               // 00000000B6F4: D3D84022 1800017C
	v_accvgpr_read_b32 v35, a125                               // 00000000B6FC: D3D84023 1800017D
	v_mul_f32_e32 v34, s47, v34                                // 00000000B704: 0A44442F
	v_mul_f32_e32 v35, s47, v35                                // 00000000B708: 0A46462F
	v_cmp_u_f32_e64 s[78:79], v34, v34                         // 00000000B70C: D048004E 00024522
	v_bfe_u32 v228, v34, 16, 1                                 // 00000000B714: D1C800E4 02052122
	v_add3_u32 v228, v34, v228, v231                           // 00000000B71C: D1FF00E4 079FC922
	v_cndmask_b32_e64 v32, v228, v230, s[78:79]                // 00000000B724: D1000020 013BCDE4
	v_lshrrev_b32_e32 v32, 16, v32                             // 00000000B72C: 20404090
	v_cmp_u_f32_e64 s[78:79], v35, v35                         // 00000000B730: D048004E 00024723
	v_bfe_u32 v228, v35, 16, 1                                 // 00000000B738: D1C800E4 02052123
	v_add3_u32 v228, v35, v228, v231                           // 00000000B740: D1FF00E4 079FC923
	v_cndmask_b32_e64 v33, v228, v230, s[78:79]                // 00000000B748: D1000021 013BCDE4
	v_and_or_b32 v58, v33, v229, v32                           // 00000000B750: D201003A 0483CB21
	v_accvgpr_read_b32 v34, a126                               // 00000000B758: D3D84022 1800017E
	v_accvgpr_read_b32 v35, a127                               // 00000000B760: D3D84023 1800017F
	v_mul_f32_e32 v34, s47, v34                                // 00000000B768: 0A44442F
	v_mul_f32_e32 v35, s47, v35                                // 00000000B76C: 0A46462F
	v_cmp_u_f32_e64 s[78:79], v34, v34                         // 00000000B770: D048004E 00024522
	v_bfe_u32 v228, v34, 16, 1                                 // 00000000B778: D1C800E4 02052122
	v_add3_u32 v228, v34, v228, v231                           // 00000000B780: D1FF00E4 079FC922
	v_cndmask_b32_e64 v32, v228, v230, s[78:79]                // 00000000B788: D1000020 013BCDE4
	v_lshrrev_b32_e32 v32, 16, v32                             // 00000000B790: 20404090
	v_cmp_u_f32_e64 s[78:79], v35, v35                         // 00000000B794: D048004E 00024723
	v_bfe_u32 v228, v35, 16, 1                                 // 00000000B79C: D1C800E4 02052123
	v_add3_u32 v228, v35, v228, v231                           // 00000000B7A4: D1FF00E4 079FC923
	v_cndmask_b32_e64 v33, v228, v230, s[78:79]                // 00000000B7AC: D1000021 013BCDE4
	v_and_or_b32 v59, v33, v229, v32                           // 00000000B7B4: D201003B 0483CB21
	ds_write_b64 v27, v[52:53]                                 // 00000000B7BC: D89A0000 0000341B
	ds_write_b64 v27, v[54:55] offset:544                      // 00000000B7C4: D89A0220 0000361B
	ds_write_b64 v27, v[56:57] offset:1088                     // 00000000B7CC: D89A0440 0000381B
	ds_write_b64 v27, v[58:59] offset:1632                     // 00000000B7D4: D89A0660 00003A1B
	s_waitcnt lgkmcnt(0)                                       // 00000000B7DC: BF8CC07F
	s_barrier                                                  // 00000000B7E0: BF8A0000
	ds_read_b64 v[52:53], v26                                  // 00000000B7E4: D8EC0000 3400001A
	ds_read_b64 v[54:55], v26 offset:128                       // 00000000B7EC: D8EC0080 3600001A
	ds_read_b64 v[56:57], v26 offset:64                        // 00000000B7F4: D8EC0040 3800001A
	ds_read_b64 v[58:59], v26 offset:192                       // 00000000B7FC: D8EC00C0 3A00001A
	s_waitcnt lgkmcnt(0)                                       // 00000000B804: BF8CC07F
	s_mov_b32 s70, s52                                         // 00000000B808: BEC60034
	buffer_store_dwordx4 v[52:55], v5, s[36:39], 0 idxen       // 00000000B80C: E07C2000 80093405
	s_mul_i32 s60, 2, s70                                      // 00000000B814: 923C4682
	v_add_u32_e32 v5, s60, v5                                  // 00000000B818: 680A0A3C
	buffer_store_dwordx4 v[56:59], v5, s[36:39], 0 idxen       // 00000000B81C: E07C2000 80093805
	s_mul_i32 s60, 2, s70                                      // 00000000B824: 923C4682
	v_add_u32_e32 v5, s60, v5                                  // 00000000B828: 680A0A3C
	s_mul_i32 s60, 12, s70                                     // 00000000B82C: 923C468C
	v_add_u32_e32 v5, s60, v5                                  // 00000000B830: 680A0A3C
	s_barrier                                                  // 00000000B834: BF8A0000
	s_cmp_ge_i32 1, s72                                        // 00000000B838: BF034881
	s_cbranch_scc1 label_2086                                  // 00000000B83C: BF8501D2
	v_accvgpr_read_b32 v34, a128                               // 00000000B840: D3D84022 18000180
	v_accvgpr_read_b32 v35, a129                               // 00000000B848: D3D84023 18000181
	v_mul_f32_e32 v34, s47, v34                                // 00000000B850: 0A44442F
	v_mul_f32_e32 v35, s47, v35                                // 00000000B854: 0A46462F
	v_cmp_u_f32_e64 s[78:79], v34, v34                         // 00000000B858: D048004E 00024522
	v_bfe_u32 v228, v34, 16, 1                                 // 00000000B860: D1C800E4 02052122
	v_add3_u32 v228, v34, v228, v231                           // 00000000B868: D1FF00E4 079FC922
	v_cndmask_b32_e64 v32, v228, v230, s[78:79]                // 00000000B870: D1000020 013BCDE4
	v_lshrrev_b32_e32 v32, 16, v32                             // 00000000B878: 20404090
	v_cmp_u_f32_e64 s[78:79], v35, v35                         // 00000000B87C: D048004E 00024723
	v_bfe_u32 v228, v35, 16, 1                                 // 00000000B884: D1C800E4 02052123
	v_add3_u32 v228, v35, v228, v231                           // 00000000B88C: D1FF00E4 079FC923
	v_cndmask_b32_e64 v33, v228, v230, s[78:79]                // 00000000B894: D1000021 013BCDE4
	v_and_or_b32 v60, v33, v229, v32                           // 00000000B89C: D201003C 0483CB21
	v_accvgpr_read_b32 v34, a130                               // 00000000B8A4: D3D84022 18000182
	v_accvgpr_read_b32 v35, a131                               // 00000000B8AC: D3D84023 18000183
	v_mul_f32_e32 v34, s47, v34                                // 00000000B8B4: 0A44442F
	v_mul_f32_e32 v35, s47, v35                                // 00000000B8B8: 0A46462F
	v_cmp_u_f32_e64 s[78:79], v34, v34                         // 00000000B8BC: D048004E 00024522
	v_bfe_u32 v228, v34, 16, 1                                 // 00000000B8C4: D1C800E4 02052122
	v_add3_u32 v228, v34, v228, v231                           // 00000000B8CC: D1FF00E4 079FC922
	v_cndmask_b32_e64 v32, v228, v230, s[78:79]                // 00000000B8D4: D1000020 013BCDE4
	v_lshrrev_b32_e32 v32, 16, v32                             // 00000000B8DC: 20404090
	v_cmp_u_f32_e64 s[78:79], v35, v35                         // 00000000B8E0: D048004E 00024723
	v_bfe_u32 v228, v35, 16, 1                                 // 00000000B8E8: D1C800E4 02052123
	v_add3_u32 v228, v35, v228, v231                           // 00000000B8F0: D1FF00E4 079FC923
	v_cndmask_b32_e64 v33, v228, v230, s[78:79]                // 00000000B8F8: D1000021 013BCDE4
	v_and_or_b32 v61, v33, v229, v32                           // 00000000B900: D201003D 0483CB21
	v_accvgpr_read_b32 v34, a132                               // 00000000B908: D3D84022 18000184
	v_accvgpr_read_b32 v35, a133                               // 00000000B910: D3D84023 18000185
	v_mul_f32_e32 v34, s47, v34                                // 00000000B918: 0A44442F
	v_mul_f32_e32 v35, s47, v35                                // 00000000B91C: 0A46462F
	v_cmp_u_f32_e64 s[78:79], v34, v34                         // 00000000B920: D048004E 00024522
	v_bfe_u32 v228, v34, 16, 1                                 // 00000000B928: D1C800E4 02052122
	v_add3_u32 v228, v34, v228, v231                           // 00000000B930: D1FF00E4 079FC922
	v_cndmask_b32_e64 v32, v228, v230, s[78:79]                // 00000000B938: D1000020 013BCDE4
	v_lshrrev_b32_e32 v32, 16, v32                             // 00000000B940: 20404090
	v_cmp_u_f32_e64 s[78:79], v35, v35                         // 00000000B944: D048004E 00024723
	v_bfe_u32 v228, v35, 16, 1                                 // 00000000B94C: D1C800E4 02052123
	v_add3_u32 v228, v35, v228, v231                           // 00000000B954: D1FF00E4 079FC923
	v_cndmask_b32_e64 v33, v228, v230, s[78:79]                // 00000000B95C: D1000021 013BCDE4
	v_and_or_b32 v62, v33, v229, v32                           // 00000000B964: D201003E 0483CB21
	v_accvgpr_read_b32 v34, a134                               // 00000000B96C: D3D84022 18000186
	v_accvgpr_read_b32 v35, a135                               // 00000000B974: D3D84023 18000187
	v_mul_f32_e32 v34, s47, v34                                // 00000000B97C: 0A44442F
	v_mul_f32_e32 v35, s47, v35                                // 00000000B980: 0A46462F
	v_cmp_u_f32_e64 s[78:79], v34, v34                         // 00000000B984: D048004E 00024522
	v_bfe_u32 v228, v34, 16, 1                                 // 00000000B98C: D1C800E4 02052122
	v_add3_u32 v228, v34, v228, v231                           // 00000000B994: D1FF00E4 079FC922
	v_cndmask_b32_e64 v32, v228, v230, s[78:79]                // 00000000B99C: D1000020 013BCDE4
	v_lshrrev_b32_e32 v32, 16, v32                             // 00000000B9A4: 20404090
	v_cmp_u_f32_e64 s[78:79], v35, v35                         // 00000000B9A8: D048004E 00024723
	v_bfe_u32 v228, v35, 16, 1                                 // 00000000B9B0: D1C800E4 02052123
	v_add3_u32 v228, v35, v228, v231                           // 00000000B9B8: D1FF00E4 079FC923
	v_cndmask_b32_e64 v33, v228, v230, s[78:79]                // 00000000B9C0: D1000021 013BCDE4
	v_and_or_b32 v63, v33, v229, v32                           // 00000000B9C8: D201003F 0483CB21
	v_accvgpr_read_b32 v34, a136                               // 00000000B9D0: D3D84022 18000188
	v_accvgpr_read_b32 v35, a137                               // 00000000B9D8: D3D84023 18000189
	v_mul_f32_e32 v34, s47, v34                                // 00000000B9E0: 0A44442F
	v_mul_f32_e32 v35, s47, v35                                // 00000000B9E4: 0A46462F
	v_cmp_u_f32_e64 s[78:79], v34, v34                         // 00000000B9E8: D048004E 00024522
	v_bfe_u32 v228, v34, 16, 1                                 // 00000000B9F0: D1C800E4 02052122
	v_add3_u32 v228, v34, v228, v231                           // 00000000B9F8: D1FF00E4 079FC922
	v_cndmask_b32_e64 v32, v228, v230, s[78:79]                // 00000000BA00: D1000020 013BCDE4
	v_lshrrev_b32_e32 v32, 16, v32                             // 00000000BA08: 20404090
	v_cmp_u_f32_e64 s[78:79], v35, v35                         // 00000000BA0C: D048004E 00024723
	v_bfe_u32 v228, v35, 16, 1                                 // 00000000BA14: D1C800E4 02052123
	v_add3_u32 v228, v35, v228, v231                           // 00000000BA1C: D1FF00E4 079FC923
	v_cndmask_b32_e64 v33, v228, v230, s[78:79]                // 00000000BA24: D1000021 013BCDE4
	v_and_or_b32 v64, v33, v229, v32                           // 00000000BA2C: D2010040 0483CB21
	v_accvgpr_read_b32 v34, a138                               // 00000000BA34: D3D84022 1800018A
	v_accvgpr_read_b32 v35, a139                               // 00000000BA3C: D3D84023 1800018B
	v_mul_f32_e32 v34, s47, v34                                // 00000000BA44: 0A44442F
	v_mul_f32_e32 v35, s47, v35                                // 00000000BA48: 0A46462F
	v_cmp_u_f32_e64 s[78:79], v34, v34                         // 00000000BA4C: D048004E 00024522
	v_bfe_u32 v228, v34, 16, 1                                 // 00000000BA54: D1C800E4 02052122
	v_add3_u32 v228, v34, v228, v231                           // 00000000BA5C: D1FF00E4 079FC922
	v_cndmask_b32_e64 v32, v228, v230, s[78:79]                // 00000000BA64: D1000020 013BCDE4
	v_lshrrev_b32_e32 v32, 16, v32                             // 00000000BA6C: 20404090
	v_cmp_u_f32_e64 s[78:79], v35, v35                         // 00000000BA70: D048004E 00024723
	v_bfe_u32 v228, v35, 16, 1                                 // 00000000BA78: D1C800E4 02052123
	v_add3_u32 v228, v35, v228, v231                           // 00000000BA80: D1FF00E4 079FC923
	v_cndmask_b32_e64 v33, v228, v230, s[78:79]                // 00000000BA88: D1000021 013BCDE4
	v_and_or_b32 v65, v33, v229, v32                           // 00000000BA90: D2010041 0483CB21
	v_accvgpr_read_b32 v34, a140                               // 00000000BA98: D3D84022 1800018C
	v_accvgpr_read_b32 v35, a141                               // 00000000BAA0: D3D84023 1800018D
	v_mul_f32_e32 v34, s47, v34                                // 00000000BAA8: 0A44442F
	v_mul_f32_e32 v35, s47, v35                                // 00000000BAAC: 0A46462F
	v_cmp_u_f32_e64 s[78:79], v34, v34                         // 00000000BAB0: D048004E 00024522
	v_bfe_u32 v228, v34, 16, 1                                 // 00000000BAB8: D1C800E4 02052122
	v_add3_u32 v228, v34, v228, v231                           // 00000000BAC0: D1FF00E4 079FC922
	v_cndmask_b32_e64 v32, v228, v230, s[78:79]                // 00000000BAC8: D1000020 013BCDE4
	v_lshrrev_b32_e32 v32, 16, v32                             // 00000000BAD0: 20404090
	v_cmp_u_f32_e64 s[78:79], v35, v35                         // 00000000BAD4: D048004E 00024723
	v_bfe_u32 v228, v35, 16, 1                                 // 00000000BADC: D1C800E4 02052123
	v_add3_u32 v228, v35, v228, v231                           // 00000000BAE4: D1FF00E4 079FC923
	v_cndmask_b32_e64 v33, v228, v230, s[78:79]                // 00000000BAEC: D1000021 013BCDE4
	v_and_or_b32 v66, v33, v229, v32                           // 00000000BAF4: D2010042 0483CB21
	v_accvgpr_read_b32 v34, a142                               // 00000000BAFC: D3D84022 1800018E
	v_accvgpr_read_b32 v35, a143                               // 00000000BB04: D3D84023 1800018F
	v_mul_f32_e32 v34, s47, v34                                // 00000000BB0C: 0A44442F
	v_mul_f32_e32 v35, s47, v35                                // 00000000BB10: 0A46462F
	v_cmp_u_f32_e64 s[78:79], v34, v34                         // 00000000BB14: D048004E 00024522
	v_bfe_u32 v228, v34, 16, 1                                 // 00000000BB1C: D1C800E4 02052122
	v_add3_u32 v228, v34, v228, v231                           // 00000000BB24: D1FF00E4 079FC922
	v_cndmask_b32_e64 v32, v228, v230, s[78:79]                // 00000000BB2C: D1000020 013BCDE4
	v_lshrrev_b32_e32 v32, 16, v32                             // 00000000BB34: 20404090
	v_cmp_u_f32_e64 s[78:79], v35, v35                         // 00000000BB38: D048004E 00024723
	v_bfe_u32 v228, v35, 16, 1                                 // 00000000BB40: D1C800E4 02052123
	v_add3_u32 v228, v35, v228, v231                           // 00000000BB48: D1FF00E4 079FC923
	v_cndmask_b32_e64 v33, v228, v230, s[78:79]                // 00000000BB50: D1000021 013BCDE4
	v_and_or_b32 v67, v33, v229, v32                           // 00000000BB58: D2010043 0483CB21
	ds_write_b64 v27, v[60:61] offset:8704                     // 00000000BB60: D89A2200 00003C1B
	ds_write_b64 v27, v[62:63] offset:9248                     // 00000000BB68: D89A2420 00003E1B
	ds_write_b64 v27, v[64:65] offset:9792                     // 00000000BB70: D89A2640 0000401B
	ds_write_b64 v27, v[66:67] offset:10336                    // 00000000BB78: D89A2860 0000421B
	s_waitcnt lgkmcnt(0)                                       // 00000000BB80: BF8CC07F
	s_barrier                                                  // 00000000BB84: BF8A0000
	ds_read_b64 v[60:61], v26 offset:8704                      // 00000000BB88: D8EC2200 3C00001A
	ds_read_b64 v[62:63], v26 offset:8832                      // 00000000BB90: D8EC2280 3E00001A
	ds_read_b64 v[64:65], v26 offset:8768                      // 00000000BB98: D8EC2240 4000001A
	ds_read_b64 v[66:67], v26 offset:8896                      // 00000000BBA0: D8EC22C0 4200001A
	s_waitcnt lgkmcnt(0)                                       // 00000000BBA8: BF8CC07F
	s_mov_b32 s70, s52                                         // 00000000BBAC: BEC60034
	buffer_store_dwordx4 v[60:63], v5, s[36:39], 0 idxen       // 00000000BBB0: E07C2000 80093C05
	s_mul_i32 s60, 2, s70                                      // 00000000BBB8: 923C4682
	v_add_u32_e32 v5, s60, v5                                  // 00000000BBBC: 680A0A3C
	buffer_store_dwordx4 v[64:67], v5, s[36:39], 0 idxen       // 00000000BBC0: E07C2000 80094005
	s_mul_i32 s60, 2, s70                                      // 00000000BBC8: 923C4682
	v_add_u32_e32 v5, s60, v5                                  // 00000000BBCC: 680A0A3C
	s_mul_i32 s60, 12, s70                                     // 00000000BBD0: 923C468C
	v_add_u32_e32 v5, s60, v5                                  // 00000000BBD4: 680A0A3C
	s_barrier                                                  // 00000000BBD8: BF8A0000
	s_cmp_ge_i32 2, s72                                        // 00000000BBDC: BF034882
	s_cbranch_scc1 label_2086                                  // 00000000BBE0: BF8500E9
	v_accvgpr_read_b32 v34, a144                               // 00000000BBE4: D3D84022 18000190
	v_accvgpr_read_b32 v35, a145                               // 00000000BBEC: D3D84023 18000191
	v_mul_f32_e32 v34, s47, v34                                // 00000000BBF4: 0A44442F
	v_mul_f32_e32 v35, s47, v35                                // 00000000BBF8: 0A46462F
	v_cmp_u_f32_e64 s[78:79], v34, v34                         // 00000000BBFC: D048004E 00024522
	v_bfe_u32 v228, v34, 16, 1                                 // 00000000BC04: D1C800E4 02052122
	v_add3_u32 v228, v34, v228, v231                           // 00000000BC0C: D1FF00E4 079FC922
	v_cndmask_b32_e64 v32, v228, v230, s[78:79]                // 00000000BC14: D1000020 013BCDE4
	v_lshrrev_b32_e32 v32, 16, v32                             // 00000000BC1C: 20404090
	v_cmp_u_f32_e64 s[78:79], v35, v35                         // 00000000BC20: D048004E 00024723
	v_bfe_u32 v228, v35, 16, 1                                 // 00000000BC28: D1C800E4 02052123
	v_add3_u32 v228, v35, v228, v231                           // 00000000BC30: D1FF00E4 079FC923
	v_cndmask_b32_e64 v33, v228, v230, s[78:79]                // 00000000BC38: D1000021 013BCDE4
	v_and_or_b32 v68, v33, v229, v32                           // 00000000BC40: D2010044 0483CB21
	v_accvgpr_read_b32 v34, a146                               // 00000000BC48: D3D84022 18000192
	v_accvgpr_read_b32 v35, a147                               // 00000000BC50: D3D84023 18000193
	v_mul_f32_e32 v34, s47, v34                                // 00000000BC58: 0A44442F
	v_mul_f32_e32 v35, s47, v35                                // 00000000BC5C: 0A46462F
	v_cmp_u_f32_e64 s[78:79], v34, v34                         // 00000000BC60: D048004E 00024522
	v_bfe_u32 v228, v34, 16, 1                                 // 00000000BC68: D1C800E4 02052122
	v_add3_u32 v228, v34, v228, v231                           // 00000000BC70: D1FF00E4 079FC922
	v_cndmask_b32_e64 v32, v228, v230, s[78:79]                // 00000000BC78: D1000020 013BCDE4
	v_lshrrev_b32_e32 v32, 16, v32                             // 00000000BC80: 20404090
	v_cmp_u_f32_e64 s[78:79], v35, v35                         // 00000000BC84: D048004E 00024723
	v_bfe_u32 v228, v35, 16, 1                                 // 00000000BC8C: D1C800E4 02052123
	v_add3_u32 v228, v35, v228, v231                           // 00000000BC94: D1FF00E4 079FC923
	v_cndmask_b32_e64 v33, v228, v230, s[78:79]                // 00000000BC9C: D1000021 013BCDE4
	v_and_or_b32 v69, v33, v229, v32                           // 00000000BCA4: D2010045 0483CB21
	v_accvgpr_read_b32 v34, a148                               // 00000000BCAC: D3D84022 18000194
	v_accvgpr_read_b32 v35, a149                               // 00000000BCB4: D3D84023 18000195
	v_mul_f32_e32 v34, s47, v34                                // 00000000BCBC: 0A44442F
	v_mul_f32_e32 v35, s47, v35                                // 00000000BCC0: 0A46462F
	v_cmp_u_f32_e64 s[78:79], v34, v34                         // 00000000BCC4: D048004E 00024522
	v_bfe_u32 v228, v34, 16, 1                                 // 00000000BCCC: D1C800E4 02052122
	v_add3_u32 v228, v34, v228, v231                           // 00000000BCD4: D1FF00E4 079FC922
	v_cndmask_b32_e64 v32, v228, v230, s[78:79]                // 00000000BCDC: D1000020 013BCDE4
	v_lshrrev_b32_e32 v32, 16, v32                             // 00000000BCE4: 20404090
	v_cmp_u_f32_e64 s[78:79], v35, v35                         // 00000000BCE8: D048004E 00024723
	v_bfe_u32 v228, v35, 16, 1                                 // 00000000BCF0: D1C800E4 02052123
	v_add3_u32 v228, v35, v228, v231                           // 00000000BCF8: D1FF00E4 079FC923
	v_cndmask_b32_e64 v33, v228, v230, s[78:79]                // 00000000BD00: D1000021 013BCDE4
	v_and_or_b32 v70, v33, v229, v32                           // 00000000BD08: D2010046 0483CB21
	v_accvgpr_read_b32 v34, a150                               // 00000000BD10: D3D84022 18000196
	v_accvgpr_read_b32 v35, a151                               // 00000000BD18: D3D84023 18000197
	v_mul_f32_e32 v34, s47, v34                                // 00000000BD20: 0A44442F
	v_mul_f32_e32 v35, s47, v35                                // 00000000BD24: 0A46462F
	v_cmp_u_f32_e64 s[78:79], v34, v34                         // 00000000BD28: D048004E 00024522
	v_bfe_u32 v228, v34, 16, 1                                 // 00000000BD30: D1C800E4 02052122
	v_add3_u32 v228, v34, v228, v231                           // 00000000BD38: D1FF00E4 079FC922
	v_cndmask_b32_e64 v32, v228, v230, s[78:79]                // 00000000BD40: D1000020 013BCDE4
	v_lshrrev_b32_e32 v32, 16, v32                             // 00000000BD48: 20404090
	v_cmp_u_f32_e64 s[78:79], v35, v35                         // 00000000BD4C: D048004E 00024723
	v_bfe_u32 v228, v35, 16, 1                                 // 00000000BD54: D1C800E4 02052123
	v_add3_u32 v228, v35, v228, v231                           // 00000000BD5C: D1FF00E4 079FC923
	v_cndmask_b32_e64 v33, v228, v230, s[78:79]                // 00000000BD64: D1000021 013BCDE4
	v_and_or_b32 v71, v33, v229, v32                           // 00000000BD6C: D2010047 0483CB21
	v_accvgpr_read_b32 v34, a152                               // 00000000BD74: D3D84022 18000198
	v_accvgpr_read_b32 v35, a153                               // 00000000BD7C: D3D84023 18000199
	v_mul_f32_e32 v34, s47, v34                                // 00000000BD84: 0A44442F
	v_mul_f32_e32 v35, s47, v35                                // 00000000BD88: 0A46462F
	v_cmp_u_f32_e64 s[78:79], v34, v34                         // 00000000BD8C: D048004E 00024522
	v_bfe_u32 v228, v34, 16, 1                                 // 00000000BD94: D1C800E4 02052122
	v_add3_u32 v228, v34, v228, v231                           // 00000000BD9C: D1FF00E4 079FC922
	v_cndmask_b32_e64 v32, v228, v230, s[78:79]                // 00000000BDA4: D1000020 013BCDE4
	v_lshrrev_b32_e32 v32, 16, v32                             // 00000000BDAC: 20404090
	v_cmp_u_f32_e64 s[78:79], v35, v35                         // 00000000BDB0: D048004E 00024723
	v_bfe_u32 v228, v35, 16, 1                                 // 00000000BDB8: D1C800E4 02052123
	v_add3_u32 v228, v35, v228, v231                           // 00000000BDC0: D1FF00E4 079FC923
	v_cndmask_b32_e64 v33, v228, v230, s[78:79]                // 00000000BDC8: D1000021 013BCDE4
	v_and_or_b32 v72, v33, v229, v32                           // 00000000BDD0: D2010048 0483CB21
	v_accvgpr_read_b32 v34, a154                               // 00000000BDD8: D3D84022 1800019A
	v_accvgpr_read_b32 v35, a155                               // 00000000BDE0: D3D84023 1800019B
	v_mul_f32_e32 v34, s47, v34                                // 00000000BDE8: 0A44442F
	v_mul_f32_e32 v35, s47, v35                                // 00000000BDEC: 0A46462F
	v_cmp_u_f32_e64 s[78:79], v34, v34                         // 00000000BDF0: D048004E 00024522
	v_bfe_u32 v228, v34, 16, 1                                 // 00000000BDF8: D1C800E4 02052122
	v_add3_u32 v228, v34, v228, v231                           // 00000000BE00: D1FF00E4 079FC922
	v_cndmask_b32_e64 v32, v228, v230, s[78:79]                // 00000000BE08: D1000020 013BCDE4
	v_lshrrev_b32_e32 v32, 16, v32                             // 00000000BE10: 20404090
	v_cmp_u_f32_e64 s[78:79], v35, v35                         // 00000000BE14: D048004E 00024723
	v_bfe_u32 v228, v35, 16, 1                                 // 00000000BE1C: D1C800E4 02052123
	v_add3_u32 v228, v35, v228, v231                           // 00000000BE24: D1FF00E4 079FC923
	v_cndmask_b32_e64 v33, v228, v230, s[78:79]                // 00000000BE2C: D1000021 013BCDE4
	v_and_or_b32 v73, v33, v229, v32                           // 00000000BE34: D2010049 0483CB21
	v_accvgpr_read_b32 v34, a156                               // 00000000BE3C: D3D84022 1800019C
	v_accvgpr_read_b32 v35, a157                               // 00000000BE44: D3D84023 1800019D
	v_mul_f32_e32 v34, s47, v34                                // 00000000BE4C: 0A44442F
	v_mul_f32_e32 v35, s47, v35                                // 00000000BE50: 0A46462F
	v_cmp_u_f32_e64 s[78:79], v34, v34                         // 00000000BE54: D048004E 00024522
	v_bfe_u32 v228, v34, 16, 1                                 // 00000000BE5C: D1C800E4 02052122
	v_add3_u32 v228, v34, v228, v231                           // 00000000BE64: D1FF00E4 079FC922
	v_cndmask_b32_e64 v32, v228, v230, s[78:79]                // 00000000BE6C: D1000020 013BCDE4
	v_lshrrev_b32_e32 v32, 16, v32                             // 00000000BE74: 20404090
	v_cmp_u_f32_e64 s[78:79], v35, v35                         // 00000000BE78: D048004E 00024723
	v_bfe_u32 v228, v35, 16, 1                                 // 00000000BE80: D1C800E4 02052123
	v_add3_u32 v228, v35, v228, v231                           // 00000000BE88: D1FF00E4 079FC923
	v_cndmask_b32_e64 v33, v228, v230, s[78:79]                // 00000000BE90: D1000021 013BCDE4
	v_and_or_b32 v74, v33, v229, v32                           // 00000000BE98: D201004A 0483CB21
	v_accvgpr_read_b32 v34, a158                               // 00000000BEA0: D3D84022 1800019E
	v_accvgpr_read_b32 v35, a159                               // 00000000BEA8: D3D84023 1800019F
	v_mul_f32_e32 v34, s47, v34                                // 00000000BEB0: 0A44442F
	v_mul_f32_e32 v35, s47, v35                                // 00000000BEB4: 0A46462F
	v_cmp_u_f32_e64 s[78:79], v34, v34                         // 00000000BEB8: D048004E 00024522
	v_bfe_u32 v228, v34, 16, 1                                 // 00000000BEC0: D1C800E4 02052122
	v_add3_u32 v228, v34, v228, v231                           // 00000000BEC8: D1FF00E4 079FC922
	v_cndmask_b32_e64 v32, v228, v230, s[78:79]                // 00000000BED0: D1000020 013BCDE4
	v_lshrrev_b32_e32 v32, 16, v32                             // 00000000BED8: 20404090
	v_cmp_u_f32_e64 s[78:79], v35, v35                         // 00000000BEDC: D048004E 00024723
	v_bfe_u32 v228, v35, 16, 1                                 // 00000000BEE4: D1C800E4 02052123
	v_add3_u32 v228, v35, v228, v231                           // 00000000BEEC: D1FF00E4 079FC923
	v_cndmask_b32_e64 v33, v228, v230, s[78:79]                // 00000000BEF4: D1000021 013BCDE4
	v_and_or_b32 v75, v33, v229, v32                           // 00000000BEFC: D201004B 0483CB21
	ds_write_b64 v27, v[68:69] offset:17408                    // 00000000BF04: D89A4400 0000441B
	ds_write_b64 v27, v[70:71] offset:17952                    // 00000000BF0C: D89A4620 0000461B
	ds_write_b64 v27, v[72:73] offset:18496                    // 00000000BF14: D89A4840 0000481B
	ds_write_b64 v27, v[74:75] offset:19040                    // 00000000BF1C: D89A4A60 00004A1B
	s_waitcnt lgkmcnt(0)                                       // 00000000BF24: BF8CC07F
	s_barrier                                                  // 00000000BF28: BF8A0000
	ds_read_b64 v[68:69], v26 offset:17408                     // 00000000BF2C: D8EC4400 4400001A
	ds_read_b64 v[70:71], v26 offset:17536                     // 00000000BF34: D8EC4480 4600001A
	ds_read_b64 v[72:73], v26 offset:17472                     // 00000000BF3C: D8EC4440 4800001A
	ds_read_b64 v[74:75], v26 offset:17600                     // 00000000BF44: D8EC44C0 4A00001A
	s_waitcnt lgkmcnt(0)                                       // 00000000BF4C: BF8CC07F
	s_mov_b32 s70, s52                                         // 00000000BF50: BEC60034
	buffer_store_dwordx4 v[68:71], v5, s[36:39], 0 idxen       // 00000000BF54: E07C2000 80094405
	s_mul_i32 s60, 2, s70                                      // 00000000BF5C: 923C4682
	v_add_u32_e32 v5, s60, v5                                  // 00000000BF60: 680A0A3C
	buffer_store_dwordx4 v[72:75], v5, s[36:39], 0 idxen       // 00000000BF64: E07C2000 80094805
	s_mul_i32 s60, 2, s70                                      // 00000000BF6C: 923C4682
	v_add_u32_e32 v5, s60, v5                                  // 00000000BF70: 680A0A3C
	s_mul_i32 s60, 12, s70                                     // 00000000BF74: 923C468C
	v_add_u32_e32 v5, s60, v5                                  // 00000000BF78: 680A0A3C
	s_barrier                                                  // 00000000BF7C: BF8A0000
	s_cmp_ge_i32 3, s72                                        // 00000000BF80: BF034883
	s_cbranch_scc1 label_2086                                  // 00000000BF84: BF850000

000000000000bf88 <label_2086>:
	v_mov_b32_e32 v34, v180                                    // 00000000BF88: 7E4403B4
	v_mov_b32_e32 v35, v181                                    // 00000000BF8C: 7E4603B5
	v_cmp_u_f32_e64 s[78:79], v34, v34                         // 00000000BF90: D048004E 00024522
	v_bfe_u32 v228, v34, 16, 1                                 // 00000000BF98: D1C800E4 02052122
	v_add3_u32 v228, v34, v228, v231                           // 00000000BFA0: D1FF00E4 079FC922
	v_cndmask_b32_e64 v32, v228, v230, s[78:79]                // 00000000BFA8: D1000020 013BCDE4
	v_lshrrev_b32_e32 v32, 16, v32                             // 00000000BFB0: 20404090
	v_cmp_u_f32_e64 s[78:79], v35, v35                         // 00000000BFB4: D048004E 00024723
	v_bfe_u32 v228, v35, 16, 1                                 // 00000000BFBC: D1C800E4 02052123
	v_add3_u32 v228, v35, v228, v231                           // 00000000BFC4: D1FF00E4 079FC923
	v_cndmask_b32_e64 v33, v228, v230, s[78:79]                // 00000000BFCC: D1000021 013BCDE4
	v_and_or_b32 v180, v33, v229, v32                          // 00000000BFD4: D20100B4 0483CB21
	v_mov_b32_e32 v34, v182                                    // 00000000BFDC: 7E4403B6
	v_mov_b32_e32 v35, v183                                    // 00000000BFE0: 7E4603B7
	v_cmp_u_f32_e64 s[78:79], v34, v34                         // 00000000BFE4: D048004E 00024522
	v_bfe_u32 v228, v34, 16, 1                                 // 00000000BFEC: D1C800E4 02052122
	v_add3_u32 v228, v34, v228, v231                           // 00000000BFF4: D1FF00E4 079FC922
	v_cndmask_b32_e64 v32, v228, v230, s[78:79]                // 00000000BFFC: D1000020 013BCDE4
	v_lshrrev_b32_e32 v32, 16, v32                             // 00000000C004: 20404090
	v_cmp_u_f32_e64 s[78:79], v35, v35                         // 00000000C008: D048004E 00024723
	v_bfe_u32 v228, v35, 16, 1                                 // 00000000C010: D1C800E4 02052123
	v_add3_u32 v228, v35, v228, v231                           // 00000000C018: D1FF00E4 079FC923
	v_cndmask_b32_e64 v33, v228, v230, s[78:79]                // 00000000C020: D1000021 013BCDE4
	v_and_or_b32 v181, v33, v229, v32                          // 00000000C028: D20100B5 0483CB21
	v_mov_b32_e32 v34, v184                                    // 00000000C030: 7E4403B8
	v_mov_b32_e32 v35, v185                                    // 00000000C034: 7E4603B9
	v_cmp_u_f32_e64 s[78:79], v34, v34                         // 00000000C038: D048004E 00024522
	v_bfe_u32 v228, v34, 16, 1                                 // 00000000C040: D1C800E4 02052122
	v_add3_u32 v228, v34, v228, v231                           // 00000000C048: D1FF00E4 079FC922
	v_cndmask_b32_e64 v32, v228, v230, s[78:79]                // 00000000C050: D1000020 013BCDE4
	v_lshrrev_b32_e32 v32, 16, v32                             // 00000000C058: 20404090
	v_cmp_u_f32_e64 s[78:79], v35, v35                         // 00000000C05C: D048004E 00024723
	v_bfe_u32 v228, v35, 16, 1                                 // 00000000C064: D1C800E4 02052123
	v_add3_u32 v228, v35, v228, v231                           // 00000000C06C: D1FF00E4 079FC923
	v_cndmask_b32_e64 v33, v228, v230, s[78:79]                // 00000000C074: D1000021 013BCDE4
	v_and_or_b32 v182, v33, v229, v32                          // 00000000C07C: D20100B6 0483CB21
	v_mov_b32_e32 v34, v186                                    // 00000000C084: 7E4403BA
	v_mov_b32_e32 v35, v187                                    // 00000000C088: 7E4603BB
	v_cmp_u_f32_e64 s[78:79], v34, v34                         // 00000000C08C: D048004E 00024522
	v_bfe_u32 v228, v34, 16, 1                                 // 00000000C094: D1C800E4 02052122
	v_add3_u32 v228, v34, v228, v231                           // 00000000C09C: D1FF00E4 079FC922
	v_cndmask_b32_e64 v32, v228, v230, s[78:79]                // 00000000C0A4: D1000020 013BCDE4
	v_lshrrev_b32_e32 v32, 16, v32                             // 00000000C0AC: 20404090
	v_cmp_u_f32_e64 s[78:79], v35, v35                         // 00000000C0B0: D048004E 00024723
	v_bfe_u32 v228, v35, 16, 1                                 // 00000000C0B8: D1C800E4 02052123
	v_add3_u32 v228, v35, v228, v231                           // 00000000C0C0: D1FF00E4 079FC923
	v_cndmask_b32_e64 v33, v228, v230, s[78:79]                // 00000000C0C8: D1000021 013BCDE4
	v_and_or_b32 v183, v33, v229, v32                          // 00000000C0D0: D20100B7 0483CB21
	v_mov_b32_e32 v34, v188                                    // 00000000C0D8: 7E4403BC
	v_mov_b32_e32 v35, v189                                    // 00000000C0DC: 7E4603BD
	v_cmp_u_f32_e64 s[78:79], v34, v34                         // 00000000C0E0: D048004E 00024522
	v_bfe_u32 v228, v34, 16, 1                                 // 00000000C0E8: D1C800E4 02052122
	v_add3_u32 v228, v34, v228, v231                           // 00000000C0F0: D1FF00E4 079FC922
	v_cndmask_b32_e64 v32, v228, v230, s[78:79]                // 00000000C0F8: D1000020 013BCDE4
	v_lshrrev_b32_e32 v32, 16, v32                             // 00000000C100: 20404090
	v_cmp_u_f32_e64 s[78:79], v35, v35                         // 00000000C104: D048004E 00024723
	v_bfe_u32 v228, v35, 16, 1                                 // 00000000C10C: D1C800E4 02052123
	v_add3_u32 v228, v35, v228, v231                           // 00000000C114: D1FF00E4 079FC923
	v_cndmask_b32_e64 v33, v228, v230, s[78:79]                // 00000000C11C: D1000021 013BCDE4
	v_and_or_b32 v184, v33, v229, v32                          // 00000000C124: D20100B8 0483CB21
	v_mov_b32_e32 v34, v190                                    // 00000000C12C: 7E4403BE
	v_mov_b32_e32 v35, v191                                    // 00000000C130: 7E4603BF
	v_cmp_u_f32_e64 s[78:79], v34, v34                         // 00000000C134: D048004E 00024522
	v_bfe_u32 v228, v34, 16, 1                                 // 00000000C13C: D1C800E4 02052122
	v_add3_u32 v228, v34, v228, v231                           // 00000000C144: D1FF00E4 079FC922
	v_cndmask_b32_e64 v32, v228, v230, s[78:79]                // 00000000C14C: D1000020 013BCDE4
	v_lshrrev_b32_e32 v32, 16, v32                             // 00000000C154: 20404090
	v_cmp_u_f32_e64 s[78:79], v35, v35                         // 00000000C158: D048004E 00024723
	v_bfe_u32 v228, v35, 16, 1                                 // 00000000C160: D1C800E4 02052123
	v_add3_u32 v228, v35, v228, v231                           // 00000000C168: D1FF00E4 079FC923
	v_cndmask_b32_e64 v33, v228, v230, s[78:79]                // 00000000C170: D1000021 013BCDE4
	v_and_or_b32 v185, v33, v229, v32                          // 00000000C178: D20100B9 0483CB21
	v_mov_b32_e32 v34, v192                                    // 00000000C180: 7E4403C0
	v_mov_b32_e32 v35, v193                                    // 00000000C184: 7E4603C1
	v_cmp_u_f32_e64 s[78:79], v34, v34                         // 00000000C188: D048004E 00024522
	v_bfe_u32 v228, v34, 16, 1                                 // 00000000C190: D1C800E4 02052122
	v_add3_u32 v228, v34, v228, v231                           // 00000000C198: D1FF00E4 079FC922
	v_cndmask_b32_e64 v32, v228, v230, s[78:79]                // 00000000C1A0: D1000020 013BCDE4
	v_lshrrev_b32_e32 v32, 16, v32                             // 00000000C1A8: 20404090
	v_cmp_u_f32_e64 s[78:79], v35, v35                         // 00000000C1AC: D048004E 00024723
	v_bfe_u32 v228, v35, 16, 1                                 // 00000000C1B4: D1C800E4 02052123
	v_add3_u32 v228, v35, v228, v231                           // 00000000C1BC: D1FF00E4 079FC923
	v_cndmask_b32_e64 v33, v228, v230, s[78:79]                // 00000000C1C4: D1000021 013BCDE4
	v_and_or_b32 v186, v33, v229, v32                          // 00000000C1CC: D20100BA 0483CB21
	v_mov_b32_e32 v34, v194                                    // 00000000C1D4: 7E4403C2
	v_mov_b32_e32 v35, v195                                    // 00000000C1D8: 7E4603C3
	v_cmp_u_f32_e64 s[78:79], v34, v34                         // 00000000C1DC: D048004E 00024522
	v_bfe_u32 v228, v34, 16, 1                                 // 00000000C1E4: D1C800E4 02052122
	v_add3_u32 v228, v34, v228, v231                           // 00000000C1EC: D1FF00E4 079FC922
	v_cndmask_b32_e64 v32, v228, v230, s[78:79]                // 00000000C1F4: D1000020 013BCDE4
	v_lshrrev_b32_e32 v32, 16, v32                             // 00000000C1FC: 20404090
	v_cmp_u_f32_e64 s[78:79], v35, v35                         // 00000000C200: D048004E 00024723
	v_bfe_u32 v228, v35, 16, 1                                 // 00000000C208: D1C800E4 02052123
	v_add3_u32 v228, v35, v228, v231                           // 00000000C210: D1FF00E4 079FC923
	v_cndmask_b32_e64 v33, v228, v230, s[78:79]                // 00000000C218: D1000021 013BCDE4
	v_and_or_b32 v187, v33, v229, v32                          // 00000000C220: D20100BB 0483CB21
	ds_write_b64 v27, v[180:181]                               // 00000000C228: D89A0000 0000B41B
	ds_write_b64 v27, v[182:183] offset:544                    // 00000000C230: D89A0220 0000B61B
	ds_write_b64 v27, v[184:185] offset:1088                   // 00000000C238: D89A0440 0000B81B
	ds_write_b64 v27, v[186:187] offset:1632                   // 00000000C240: D89A0660 0000BA1B
	s_waitcnt lgkmcnt(0)                                       // 00000000C248: BF8CC07F
	s_barrier                                                  // 00000000C24C: BF8A0000
	ds_read_b64 v[180:181], v26                                // 00000000C250: D8EC0000 B400001A
	ds_read_b64 v[182:183], v26 offset:128                     // 00000000C258: D8EC0080 B600001A
	ds_read_b64 v[184:185], v26 offset:64                      // 00000000C260: D8EC0040 B800001A
	ds_read_b64 v[186:187], v26 offset:192                     // 00000000C268: D8EC00C0 BA00001A
	s_waitcnt lgkmcnt(0)                                       // 00000000C270: BF8CC07F
	s_mov_b32 s70, s53                                         // 00000000C274: BEC60035
	buffer_store_dwordx4 v[180:183], v10, s[40:43], 0 idxen    // 00000000C278: E07C2000 800AB40A
	s_mul_i32 s60, 2, s70                                      // 00000000C280: 923C4682
	v_add_u32_e32 v10, s60, v10                                // 00000000C284: 6814143C
	buffer_store_dwordx4 v[184:187], v10, s[40:43], 0 idxen    // 00000000C288: E07C2000 800AB80A
	s_mul_i32 s60, 2, s70                                      // 00000000C290: 923C4682
	v_add_u32_e32 v10, s60, v10                                // 00000000C294: 6814143C
	s_mul_i32 s60, 12, s70                                     // 00000000C298: 923C468C
	v_add_u32_e32 v10, s60, v10                                // 00000000C29C: 6814143C
	s_cmp_ge_i32 1, s72                                        // 00000000C2A0: BF034881
	s_cbranch_scc1 label_22DE                                  // 00000000C2A4: BF850190
	v_mov_b32_e32 v34, v196                                    // 00000000C2A8: 7E4403C4
	v_mov_b32_e32 v35, v197                                    // 00000000C2AC: 7E4603C5
	v_cmp_u_f32_e64 s[78:79], v34, v34                         // 00000000C2B0: D048004E 00024522
	v_bfe_u32 v228, v34, 16, 1                                 // 00000000C2B8: D1C800E4 02052122
	v_add3_u32 v228, v34, v228, v231                           // 00000000C2C0: D1FF00E4 079FC922
	v_cndmask_b32_e64 v32, v228, v230, s[78:79]                // 00000000C2C8: D1000020 013BCDE4
	v_lshrrev_b32_e32 v32, 16, v32                             // 00000000C2D0: 20404090
	v_cmp_u_f32_e64 s[78:79], v35, v35                         // 00000000C2D4: D048004E 00024723
	v_bfe_u32 v228, v35, 16, 1                                 // 00000000C2DC: D1C800E4 02052123
	v_add3_u32 v228, v35, v228, v231                           // 00000000C2E4: D1FF00E4 079FC923
	v_cndmask_b32_e64 v33, v228, v230, s[78:79]                // 00000000C2EC: D1000021 013BCDE4
	v_and_or_b32 v188, v33, v229, v32                          // 00000000C2F4: D20100BC 0483CB21
	v_mov_b32_e32 v34, v198                                    // 00000000C2FC: 7E4403C6
	v_mov_b32_e32 v35, v199                                    // 00000000C300: 7E4603C7
	v_cmp_u_f32_e64 s[78:79], v34, v34                         // 00000000C304: D048004E 00024522
	v_bfe_u32 v228, v34, 16, 1                                 // 00000000C30C: D1C800E4 02052122
	v_add3_u32 v228, v34, v228, v231                           // 00000000C314: D1FF00E4 079FC922
	v_cndmask_b32_e64 v32, v228, v230, s[78:79]                // 00000000C31C: D1000020 013BCDE4
	v_lshrrev_b32_e32 v32, 16, v32                             // 00000000C324: 20404090
	v_cmp_u_f32_e64 s[78:79], v35, v35                         // 00000000C328: D048004E 00024723
	v_bfe_u32 v228, v35, 16, 1                                 // 00000000C330: D1C800E4 02052123
	v_add3_u32 v228, v35, v228, v231                           // 00000000C338: D1FF00E4 079FC923
	v_cndmask_b32_e64 v33, v228, v230, s[78:79]                // 00000000C340: D1000021 013BCDE4
	v_and_or_b32 v189, v33, v229, v32                          // 00000000C348: D20100BD 0483CB21
	v_mov_b32_e32 v34, v200                                    // 00000000C350: 7E4403C8
	v_mov_b32_e32 v35, v201                                    // 00000000C354: 7E4603C9
	v_cmp_u_f32_e64 s[78:79], v34, v34                         // 00000000C358: D048004E 00024522
	v_bfe_u32 v228, v34, 16, 1                                 // 00000000C360: D1C800E4 02052122
	v_add3_u32 v228, v34, v228, v231                           // 00000000C368: D1FF00E4 079FC922
	v_cndmask_b32_e64 v32, v228, v230, s[78:79]                // 00000000C370: D1000020 013BCDE4
	v_lshrrev_b32_e32 v32, 16, v32                             // 00000000C378: 20404090
	v_cmp_u_f32_e64 s[78:79], v35, v35                         // 00000000C37C: D048004E 00024723
	v_bfe_u32 v228, v35, 16, 1                                 // 00000000C384: D1C800E4 02052123
	v_add3_u32 v228, v35, v228, v231                           // 00000000C38C: D1FF00E4 079FC923
	v_cndmask_b32_e64 v33, v228, v230, s[78:79]                // 00000000C394: D1000021 013BCDE4
	v_and_or_b32 v190, v33, v229, v32                          // 00000000C39C: D20100BE 0483CB21
	v_mov_b32_e32 v34, v202                                    // 00000000C3A4: 7E4403CA
	v_mov_b32_e32 v35, v203                                    // 00000000C3A8: 7E4603CB
	v_cmp_u_f32_e64 s[78:79], v34, v34                         // 00000000C3AC: D048004E 00024522
	v_bfe_u32 v228, v34, 16, 1                                 // 00000000C3B4: D1C800E4 02052122
	v_add3_u32 v228, v34, v228, v231                           // 00000000C3BC: D1FF00E4 079FC922
	v_cndmask_b32_e64 v32, v228, v230, s[78:79]                // 00000000C3C4: D1000020 013BCDE4
	v_lshrrev_b32_e32 v32, 16, v32                             // 00000000C3CC: 20404090
	v_cmp_u_f32_e64 s[78:79], v35, v35                         // 00000000C3D0: D048004E 00024723
	v_bfe_u32 v228, v35, 16, 1                                 // 00000000C3D8: D1C800E4 02052123
	v_add3_u32 v228, v35, v228, v231                           // 00000000C3E0: D1FF00E4 079FC923
	v_cndmask_b32_e64 v33, v228, v230, s[78:79]                // 00000000C3E8: D1000021 013BCDE4
	v_and_or_b32 v191, v33, v229, v32                          // 00000000C3F0: D20100BF 0483CB21
	v_mov_b32_e32 v34, v204                                    // 00000000C3F8: 7E4403CC
	v_mov_b32_e32 v35, v205                                    // 00000000C3FC: 7E4603CD
	v_cmp_u_f32_e64 s[78:79], v34, v34                         // 00000000C400: D048004E 00024522
	v_bfe_u32 v228, v34, 16, 1                                 // 00000000C408: D1C800E4 02052122
	v_add3_u32 v228, v34, v228, v231                           // 00000000C410: D1FF00E4 079FC922
	v_cndmask_b32_e64 v32, v228, v230, s[78:79]                // 00000000C418: D1000020 013BCDE4
	v_lshrrev_b32_e32 v32, 16, v32                             // 00000000C420: 20404090
	v_cmp_u_f32_e64 s[78:79], v35, v35                         // 00000000C424: D048004E 00024723
	v_bfe_u32 v228, v35, 16, 1                                 // 00000000C42C: D1C800E4 02052123
	v_add3_u32 v228, v35, v228, v231                           // 00000000C434: D1FF00E4 079FC923
	v_cndmask_b32_e64 v33, v228, v230, s[78:79]                // 00000000C43C: D1000021 013BCDE4
	v_and_or_b32 v192, v33, v229, v32                          // 00000000C444: D20100C0 0483CB21
	v_mov_b32_e32 v34, v206                                    // 00000000C44C: 7E4403CE
	v_mov_b32_e32 v35, v207                                    // 00000000C450: 7E4603CF
	v_cmp_u_f32_e64 s[78:79], v34, v34                         // 00000000C454: D048004E 00024522
	v_bfe_u32 v228, v34, 16, 1                                 // 00000000C45C: D1C800E4 02052122
	v_add3_u32 v228, v34, v228, v231                           // 00000000C464: D1FF00E4 079FC922
	v_cndmask_b32_e64 v32, v228, v230, s[78:79]                // 00000000C46C: D1000020 013BCDE4
	v_lshrrev_b32_e32 v32, 16, v32                             // 00000000C474: 20404090
	v_cmp_u_f32_e64 s[78:79], v35, v35                         // 00000000C478: D048004E 00024723
	v_bfe_u32 v228, v35, 16, 1                                 // 00000000C480: D1C800E4 02052123
	v_add3_u32 v228, v35, v228, v231                           // 00000000C488: D1FF00E4 079FC923
	v_cndmask_b32_e64 v33, v228, v230, s[78:79]                // 00000000C490: D1000021 013BCDE4
	v_and_or_b32 v193, v33, v229, v32                          // 00000000C498: D20100C1 0483CB21
	v_mov_b32_e32 v34, v208                                    // 00000000C4A0: 7E4403D0
	v_mov_b32_e32 v35, v209                                    // 00000000C4A4: 7E4603D1
	v_cmp_u_f32_e64 s[78:79], v34, v34                         // 00000000C4A8: D048004E 00024522
	v_bfe_u32 v228, v34, 16, 1                                 // 00000000C4B0: D1C800E4 02052122
	v_add3_u32 v228, v34, v228, v231                           // 00000000C4B8: D1FF00E4 079FC922
	v_cndmask_b32_e64 v32, v228, v230, s[78:79]                // 00000000C4C0: D1000020 013BCDE4
	v_lshrrev_b32_e32 v32, 16, v32                             // 00000000C4C8: 20404090
	v_cmp_u_f32_e64 s[78:79], v35, v35                         // 00000000C4CC: D048004E 00024723
	v_bfe_u32 v228, v35, 16, 1                                 // 00000000C4D4: D1C800E4 02052123
	v_add3_u32 v228, v35, v228, v231                           // 00000000C4DC: D1FF00E4 079FC923
	v_cndmask_b32_e64 v33, v228, v230, s[78:79]                // 00000000C4E4: D1000021 013BCDE4
	v_and_or_b32 v194, v33, v229, v32                          // 00000000C4EC: D20100C2 0483CB21
	v_mov_b32_e32 v34, v210                                    // 00000000C4F4: 7E4403D2
	v_mov_b32_e32 v35, v211                                    // 00000000C4F8: 7E4603D3
	v_cmp_u_f32_e64 s[78:79], v34, v34                         // 00000000C4FC: D048004E 00024522
	v_bfe_u32 v228, v34, 16, 1                                 // 00000000C504: D1C800E4 02052122
	v_add3_u32 v228, v34, v228, v231                           // 00000000C50C: D1FF00E4 079FC922
	v_cndmask_b32_e64 v32, v228, v230, s[78:79]                // 00000000C514: D1000020 013BCDE4
	v_lshrrev_b32_e32 v32, 16, v32                             // 00000000C51C: 20404090
	v_cmp_u_f32_e64 s[78:79], v35, v35                         // 00000000C520: D048004E 00024723
	v_bfe_u32 v228, v35, 16, 1                                 // 00000000C528: D1C800E4 02052123
	v_add3_u32 v228, v35, v228, v231                           // 00000000C530: D1FF00E4 079FC923
	v_cndmask_b32_e64 v33, v228, v230, s[78:79]                // 00000000C538: D1000021 013BCDE4
	v_and_or_b32 v195, v33, v229, v32                          // 00000000C540: D20100C3 0483CB21
	ds_write_b64 v27, v[188:189] offset:8704                   // 00000000C548: D89A2200 0000BC1B
	ds_write_b64 v27, v[190:191] offset:9248                   // 00000000C550: D89A2420 0000BE1B
	ds_write_b64 v27, v[192:193] offset:9792                   // 00000000C558: D89A2640 0000C01B
	ds_write_b64 v27, v[194:195] offset:10336                  // 00000000C560: D89A2860 0000C21B
	s_waitcnt lgkmcnt(0)                                       // 00000000C568: BF8CC07F
	s_barrier                                                  // 00000000C56C: BF8A0000
	ds_read_b64 v[188:189], v26 offset:8704                    // 00000000C570: D8EC2200 BC00001A
	ds_read_b64 v[190:191], v26 offset:8832                    // 00000000C578: D8EC2280 BE00001A
	ds_read_b64 v[192:193], v26 offset:8768                    // 00000000C580: D8EC2240 C000001A
	ds_read_b64 v[194:195], v26 offset:8896                    // 00000000C588: D8EC22C0 C200001A
	s_waitcnt lgkmcnt(0)                                       // 00000000C590: BF8CC07F
	s_mov_b32 s70, s53                                         // 00000000C594: BEC60035
	buffer_store_dwordx4 v[188:191], v10, s[40:43], 0 idxen    // 00000000C598: E07C2000 800ABC0A
	s_mul_i32 s60, 2, s70                                      // 00000000C5A0: 923C4682
	v_add_u32_e32 v10, s60, v10                                // 00000000C5A4: 6814143C
	buffer_store_dwordx4 v[192:195], v10, s[40:43], 0 idxen    // 00000000C5A8: E07C2000 800AC00A
	s_mul_i32 s60, 2, s70                                      // 00000000C5B0: 923C4682
	v_add_u32_e32 v10, s60, v10                                // 00000000C5B4: 6814143C
	s_mul_i32 s60, 12, s70                                     // 00000000C5B8: 923C468C
	v_add_u32_e32 v10, s60, v10                                // 00000000C5BC: 6814143C
	s_cmp_ge_i32 2, s72                                        // 00000000C5C0: BF034882
	s_cbranch_scc1 label_22DE                                  // 00000000C5C4: BF8500C8
	v_mov_b32_e32 v34, v212                                    // 00000000C5C8: 7E4403D4
	v_mov_b32_e32 v35, v213                                    // 00000000C5CC: 7E4603D5
	v_cmp_u_f32_e64 s[78:79], v34, v34                         // 00000000C5D0: D048004E 00024522
	v_bfe_u32 v228, v34, 16, 1                                 // 00000000C5D8: D1C800E4 02052122
	v_add3_u32 v228, v34, v228, v231                           // 00000000C5E0: D1FF00E4 079FC922
	v_cndmask_b32_e64 v32, v228, v230, s[78:79]                // 00000000C5E8: D1000020 013BCDE4
	v_lshrrev_b32_e32 v32, 16, v32                             // 00000000C5F0: 20404090
	v_cmp_u_f32_e64 s[78:79], v35, v35                         // 00000000C5F4: D048004E 00024723
	v_bfe_u32 v228, v35, 16, 1                                 // 00000000C5FC: D1C800E4 02052123
	v_add3_u32 v228, v35, v228, v231                           // 00000000C604: D1FF00E4 079FC923
	v_cndmask_b32_e64 v33, v228, v230, s[78:79]                // 00000000C60C: D1000021 013BCDE4
	v_and_or_b32 v196, v33, v229, v32                          // 00000000C614: D20100C4 0483CB21
	v_mov_b32_e32 v34, v214                                    // 00000000C61C: 7E4403D6
	v_mov_b32_e32 v35, v215                                    // 00000000C620: 7E4603D7
	v_cmp_u_f32_e64 s[78:79], v34, v34                         // 00000000C624: D048004E 00024522
	v_bfe_u32 v228, v34, 16, 1                                 // 00000000C62C: D1C800E4 02052122
	v_add3_u32 v228, v34, v228, v231                           // 00000000C634: D1FF00E4 079FC922
	v_cndmask_b32_e64 v32, v228, v230, s[78:79]                // 00000000C63C: D1000020 013BCDE4
	v_lshrrev_b32_e32 v32, 16, v32                             // 00000000C644: 20404090
	v_cmp_u_f32_e64 s[78:79], v35, v35                         // 00000000C648: D048004E 00024723
	v_bfe_u32 v228, v35, 16, 1                                 // 00000000C650: D1C800E4 02052123
	v_add3_u32 v228, v35, v228, v231                           // 00000000C658: D1FF00E4 079FC923
	v_cndmask_b32_e64 v33, v228, v230, s[78:79]                // 00000000C660: D1000021 013BCDE4
	v_and_or_b32 v197, v33, v229, v32                          // 00000000C668: D20100C5 0483CB21
	v_mov_b32_e32 v34, v216                                    // 00000000C670: 7E4403D8
	v_mov_b32_e32 v35, v217                                    // 00000000C674: 7E4603D9
	v_cmp_u_f32_e64 s[78:79], v34, v34                         // 00000000C678: D048004E 00024522
	v_bfe_u32 v228, v34, 16, 1                                 // 00000000C680: D1C800E4 02052122
	v_add3_u32 v228, v34, v228, v231                           // 00000000C688: D1FF00E4 079FC922
	v_cndmask_b32_e64 v32, v228, v230, s[78:79]                // 00000000C690: D1000020 013BCDE4
	v_lshrrev_b32_e32 v32, 16, v32                             // 00000000C698: 20404090
	v_cmp_u_f32_e64 s[78:79], v35, v35                         // 00000000C69C: D048004E 00024723
	v_bfe_u32 v228, v35, 16, 1                                 // 00000000C6A4: D1C800E4 02052123
	v_add3_u32 v228, v35, v228, v231                           // 00000000C6AC: D1FF00E4 079FC923
	v_cndmask_b32_e64 v33, v228, v230, s[78:79]                // 00000000C6B4: D1000021 013BCDE4
	v_and_or_b32 v198, v33, v229, v32                          // 00000000C6BC: D20100C6 0483CB21
	v_mov_b32_e32 v34, v218                                    // 00000000C6C4: 7E4403DA
	v_mov_b32_e32 v35, v219                                    // 00000000C6C8: 7E4603DB
	v_cmp_u_f32_e64 s[78:79], v34, v34                         // 00000000C6CC: D048004E 00024522
	v_bfe_u32 v228, v34, 16, 1                                 // 00000000C6D4: D1C800E4 02052122
	v_add3_u32 v228, v34, v228, v231                           // 00000000C6DC: D1FF00E4 079FC922
	v_cndmask_b32_e64 v32, v228, v230, s[78:79]                // 00000000C6E4: D1000020 013BCDE4
	v_lshrrev_b32_e32 v32, 16, v32                             // 00000000C6EC: 20404090
	v_cmp_u_f32_e64 s[78:79], v35, v35                         // 00000000C6F0: D048004E 00024723
	v_bfe_u32 v228, v35, 16, 1                                 // 00000000C6F8: D1C800E4 02052123
	v_add3_u32 v228, v35, v228, v231                           // 00000000C700: D1FF00E4 079FC923
	v_cndmask_b32_e64 v33, v228, v230, s[78:79]                // 00000000C708: D1000021 013BCDE4
	v_and_or_b32 v199, v33, v229, v32                          // 00000000C710: D20100C7 0483CB21
	v_mov_b32_e32 v34, v220                                    // 00000000C718: 7E4403DC
	v_mov_b32_e32 v35, v221                                    // 00000000C71C: 7E4603DD
	v_cmp_u_f32_e64 s[78:79], v34, v34                         // 00000000C720: D048004E 00024522
	v_bfe_u32 v228, v34, 16, 1                                 // 00000000C728: D1C800E4 02052122
	v_add3_u32 v228, v34, v228, v231                           // 00000000C730: D1FF00E4 079FC922
	v_cndmask_b32_e64 v32, v228, v230, s[78:79]                // 00000000C738: D1000020 013BCDE4
	v_lshrrev_b32_e32 v32, 16, v32                             // 00000000C740: 20404090
	v_cmp_u_f32_e64 s[78:79], v35, v35                         // 00000000C744: D048004E 00024723
	v_bfe_u32 v228, v35, 16, 1                                 // 00000000C74C: D1C800E4 02052123
	v_add3_u32 v228, v35, v228, v231                           // 00000000C754: D1FF00E4 079FC923
	v_cndmask_b32_e64 v33, v228, v230, s[78:79]                // 00000000C75C: D1000021 013BCDE4
	v_and_or_b32 v200, v33, v229, v32                          // 00000000C764: D20100C8 0483CB21
	v_mov_b32_e32 v34, v222                                    // 00000000C76C: 7E4403DE
	v_mov_b32_e32 v35, v223                                    // 00000000C770: 7E4603DF
	v_cmp_u_f32_e64 s[78:79], v34, v34                         // 00000000C774: D048004E 00024522
	v_bfe_u32 v228, v34, 16, 1                                 // 00000000C77C: D1C800E4 02052122
	v_add3_u32 v228, v34, v228, v231                           // 00000000C784: D1FF00E4 079FC922
	v_cndmask_b32_e64 v32, v228, v230, s[78:79]                // 00000000C78C: D1000020 013BCDE4
	v_lshrrev_b32_e32 v32, 16, v32                             // 00000000C794: 20404090
	v_cmp_u_f32_e64 s[78:79], v35, v35                         // 00000000C798: D048004E 00024723
	v_bfe_u32 v228, v35, 16, 1                                 // 00000000C7A0: D1C800E4 02052123
	v_add3_u32 v228, v35, v228, v231                           // 00000000C7A8: D1FF00E4 079FC923
	v_cndmask_b32_e64 v33, v228, v230, s[78:79]                // 00000000C7B0: D1000021 013BCDE4
	v_and_or_b32 v201, v33, v229, v32                          // 00000000C7B8: D20100C9 0483CB21
	v_mov_b32_e32 v34, v224                                    // 00000000C7C0: 7E4403E0
	v_mov_b32_e32 v35, v225                                    // 00000000C7C4: 7E4603E1
	v_cmp_u_f32_e64 s[78:79], v34, v34                         // 00000000C7C8: D048004E 00024522
	v_bfe_u32 v228, v34, 16, 1                                 // 00000000C7D0: D1C800E4 02052122
	v_add3_u32 v228, v34, v228, v231                           // 00000000C7D8: D1FF00E4 079FC922
	v_cndmask_b32_e64 v32, v228, v230, s[78:79]                // 00000000C7E0: D1000020 013BCDE4
	v_lshrrev_b32_e32 v32, 16, v32                             // 00000000C7E8: 20404090
	v_cmp_u_f32_e64 s[78:79], v35, v35                         // 00000000C7EC: D048004E 00024723
	v_bfe_u32 v228, v35, 16, 1                                 // 00000000C7F4: D1C800E4 02052123
	v_add3_u32 v228, v35, v228, v231                           // 00000000C7FC: D1FF00E4 079FC923
	v_cndmask_b32_e64 v33, v228, v230, s[78:79]                // 00000000C804: D1000021 013BCDE4
	v_and_or_b32 v202, v33, v229, v32                          // 00000000C80C: D20100CA 0483CB21
	v_mov_b32_e32 v34, v226                                    // 00000000C814: 7E4403E2
	v_mov_b32_e32 v35, v227                                    // 00000000C818: 7E4603E3
	v_cmp_u_f32_e64 s[78:79], v34, v34                         // 00000000C81C: D048004E 00024522
	v_bfe_u32 v228, v34, 16, 1                                 // 00000000C824: D1C800E4 02052122
	v_add3_u32 v228, v34, v228, v231                           // 00000000C82C: D1FF00E4 079FC922
	v_cndmask_b32_e64 v32, v228, v230, s[78:79]                // 00000000C834: D1000020 013BCDE4
	v_lshrrev_b32_e32 v32, 16, v32                             // 00000000C83C: 20404090
	v_cmp_u_f32_e64 s[78:79], v35, v35                         // 00000000C840: D048004E 00024723
	v_bfe_u32 v228, v35, 16, 1                                 // 00000000C848: D1C800E4 02052123
	v_add3_u32 v228, v35, v228, v231                           // 00000000C850: D1FF00E4 079FC923
	v_cndmask_b32_e64 v33, v228, v230, s[78:79]                // 00000000C858: D1000021 013BCDE4
	v_and_or_b32 v203, v33, v229, v32                          // 00000000C860: D20100CB 0483CB21
	ds_write_b64 v27, v[196:197] offset:17408                  // 00000000C868: D89A4400 0000C41B
	ds_write_b64 v27, v[198:199] offset:17952                  // 00000000C870: D89A4620 0000C61B
	ds_write_b64 v27, v[200:201] offset:18496                  // 00000000C878: D89A4840 0000C81B
	ds_write_b64 v27, v[202:203] offset:19040                  // 00000000C880: D89A4A60 0000CA1B
	s_waitcnt lgkmcnt(0)                                       // 00000000C888: BF8CC07F
	s_barrier                                                  // 00000000C88C: BF8A0000
	ds_read_b64 v[196:197], v26 offset:17408                   // 00000000C890: D8EC4400 C400001A
	ds_read_b64 v[198:199], v26 offset:17536                   // 00000000C898: D8EC4480 C600001A
	ds_read_b64 v[200:201], v26 offset:17472                   // 00000000C8A0: D8EC4440 C800001A
	ds_read_b64 v[202:203], v26 offset:17600                   // 00000000C8A8: D8EC44C0 CA00001A
	s_waitcnt lgkmcnt(0)                                       // 00000000C8B0: BF8CC07F
	s_mov_b32 s70, s53                                         // 00000000C8B4: BEC60035
	buffer_store_dwordx4 v[196:199], v10, s[40:43], 0 idxen    // 00000000C8B8: E07C2000 800AC40A
	s_mul_i32 s60, 2, s70                                      // 00000000C8C0: 923C4682
	v_add_u32_e32 v10, s60, v10                                // 00000000C8C4: 6814143C
	buffer_store_dwordx4 v[200:203], v10, s[40:43], 0 idxen    // 00000000C8C8: E07C2000 800AC80A
	s_mul_i32 s60, 2, s70                                      // 00000000C8D0: 923C4682
	v_add_u32_e32 v10, s60, v10                                // 00000000C8D4: 6814143C
	s_mul_i32 s60, 12, s70                                     // 00000000C8D8: 923C468C
	v_add_u32_e32 v10, s60, v10                                // 00000000C8DC: 6814143C
	s_cmp_ge_i32 3, s72                                        // 00000000C8E0: BF034883
	s_cbranch_scc1 label_22DE                                  // 00000000C8E4: BF850000

000000000000c8e8 <label_22DE>:
	s_waitcnt vmcnt(0) expcnt(0) lgkmcnt(0)                    // 00000000C8E8: BF8C0000
	s_sub_i32 s60, s77, 1                                      // 00000000C8EC: 81BC814D
	s_sub_i32 s2, s60, s2                                      // 00000000C8F0: 8182023C
	s_addk_i32 s75, 0x1                                        // 00000000C8F4: B74B0001
	s_cmp_lt_i32 s75, s76                                      // 00000000C8F8: BF044C4B
	s_cbranch_scc1 label_0151                                  // 00000000C8FC: BF85DE91
	s_endpgm                                                   // 00000000C900: BF810000
